;; amdgpu-corpus repo=ROCm/composable_kernel kind=compiled arch=gfx90a opt=O3
	.text
	.amdgcn_target "amdgcn-amd-amdhsa--gfx90a"
	.amdhsa_code_object_version 6
	.section	.text._ZN2ckL12flush_icacheEv,"axG",@progbits,_ZN2ckL12flush_icacheEv,comdat
	.globl	_ZN2ckL12flush_icacheEv         ; -- Begin function _ZN2ckL12flush_icacheEv
	.p2align	8
	.type	_ZN2ckL12flush_icacheEv,@function
_ZN2ckL12flush_icacheEv:                ; @_ZN2ckL12flush_icacheEv
; %bb.0:
	;;#ASMSTART
	s_icache_inv 
	s_nop 0 
	s_nop 0 
	;; [unrolled: 1-line block ×16, first 2 shown]
	
	;;#ASMEND
	s_endpgm
	.section	.rodata,"a",@progbits
	.p2align	6, 0x0
	.amdhsa_kernel _ZN2ckL12flush_icacheEv
		.amdhsa_group_segment_fixed_size 0
		.amdhsa_private_segment_fixed_size 0
		.amdhsa_kernarg_size 0
		.amdhsa_user_sgpr_count 4
		.amdhsa_user_sgpr_private_segment_buffer 1
		.amdhsa_user_sgpr_dispatch_ptr 0
		.amdhsa_user_sgpr_queue_ptr 0
		.amdhsa_user_sgpr_kernarg_segment_ptr 0
		.amdhsa_user_sgpr_dispatch_id 0
		.amdhsa_user_sgpr_flat_scratch_init 0
		.amdhsa_user_sgpr_kernarg_preload_length 0
		.amdhsa_user_sgpr_kernarg_preload_offset 0
		.amdhsa_user_sgpr_private_segment_size 0
		.amdhsa_uses_dynamic_stack 0
		.amdhsa_system_sgpr_private_segment_wavefront_offset 0
		.amdhsa_system_sgpr_workgroup_id_x 1
		.amdhsa_system_sgpr_workgroup_id_y 0
		.amdhsa_system_sgpr_workgroup_id_z 0
		.amdhsa_system_sgpr_workgroup_info 0
		.amdhsa_system_vgpr_workitem_id 0
		.amdhsa_next_free_vgpr 1
		.amdhsa_next_free_sgpr 0
		.amdhsa_accum_offset 4
		.amdhsa_reserve_vcc 0
		.amdhsa_reserve_flat_scratch 0
		.amdhsa_float_round_mode_32 0
		.amdhsa_float_round_mode_16_64 0
		.amdhsa_float_denorm_mode_32 3
		.amdhsa_float_denorm_mode_16_64 3
		.amdhsa_dx10_clamp 1
		.amdhsa_ieee_mode 1
		.amdhsa_fp16_overflow 0
		.amdhsa_tg_split 0
		.amdhsa_exception_fp_ieee_invalid_op 0
		.amdhsa_exception_fp_denorm_src 0
		.amdhsa_exception_fp_ieee_div_zero 0
		.amdhsa_exception_fp_ieee_overflow 0
		.amdhsa_exception_fp_ieee_underflow 0
		.amdhsa_exception_fp_ieee_inexact 0
		.amdhsa_exception_int_div_zero 0
	.end_amdhsa_kernel
	.section	.text._ZN2ckL12flush_icacheEv,"axG",@progbits,_ZN2ckL12flush_icacheEv,comdat
.Lfunc_end0:
	.size	_ZN2ckL12flush_icacheEv, .Lfunc_end0-_ZN2ckL12flush_icacheEv
                                        ; -- End function
	.section	.AMDGPU.csdata,"",@progbits
; Kernel info:
; codeLenInByte = 140
; NumSgprs: 4
; NumVgprs: 0
; NumAgprs: 0
; TotalNumVgprs: 0
; ScratchSize: 0
; MemoryBound: 0
; FloatMode: 240
; IeeeMode: 1
; LDSByteSize: 0 bytes/workgroup (compile time only)
; SGPRBlocks: 0
; VGPRBlocks: 0
; NumSGPRsForWavesPerEU: 4
; NumVGPRsForWavesPerEU: 1
; AccumOffset: 4
; Occupancy: 8
; WaveLimiterHint : 0
; COMPUTE_PGM_RSRC2:SCRATCH_EN: 0
; COMPUTE_PGM_RSRC2:USER_SGPR: 4
; COMPUTE_PGM_RSRC2:TRAP_HANDLER: 0
; COMPUTE_PGM_RSRC2:TGID_X_EN: 1
; COMPUTE_PGM_RSRC2:TGID_Y_EN: 0
; COMPUTE_PGM_RSRC2:TGID_Z_EN: 0
; COMPUTE_PGM_RSRC2:TIDIG_COMP_CNT: 0
; COMPUTE_PGM_RSRC3_GFX90A:ACCUM_OFFSET: 0
; COMPUTE_PGM_RSRC3_GFX90A:TG_SPLIT: 0
	.section	.text._ZN2ck27kernel_gemm_xdl_cshuffle_v3INS_28GridwiseGemm_xdl_cshuffle_v3INS_13tensor_layout4gemm8RowMajorENS3_11ColumnMajorES4_fffffNS_16tensor_operation12element_wise11PassThroughES8_S8_LNS6_6device18GemmSpecializationE0ELi128ELi64ELi64ELi64ELi4ELi4ELi16ELi16ELi2ELi4ENS_8SequenceIJLi4ELi32ELi1EEEENSB_IJLi1ELi0ELi2EEEESD_Li2ELi2ELi2ELb0ELi0ESC_SD_SD_Li2ELi2ELi2ELb0ELi0ELi1ELi2ENSB_IJLi1ELi32ELi1ELi4EEEELi2ELNS_26BlockGemmPipelineSchedulerE0ELNS_24BlockGemmPipelineVersionE2EffLb0ELb0ELb0ELi0ELb0EEELb1ELNS_25InMemoryDataOperationEnumE1ELi2ELNS_10TailNumberE10EEEvNT_8ArgumentE,"axG",@progbits,_ZN2ck27kernel_gemm_xdl_cshuffle_v3INS_28GridwiseGemm_xdl_cshuffle_v3INS_13tensor_layout4gemm8RowMajorENS3_11ColumnMajorES4_fffffNS_16tensor_operation12element_wise11PassThroughES8_S8_LNS6_6device18GemmSpecializationE0ELi128ELi64ELi64ELi64ELi4ELi4ELi16ELi16ELi2ELi4ENS_8SequenceIJLi4ELi32ELi1EEEENSB_IJLi1ELi0ELi2EEEESD_Li2ELi2ELi2ELb0ELi0ESC_SD_SD_Li2ELi2ELi2ELb0ELi0ELi1ELi2ENSB_IJLi1ELi32ELi1ELi4EEEELi2ELNS_26BlockGemmPipelineSchedulerE0ELNS_24BlockGemmPipelineVersionE2EffLb0ELb0ELb0ELi0ELb0EEELb1ELNS_25InMemoryDataOperationEnumE1ELi2ELNS_10TailNumberE10EEEvNT_8ArgumentE,comdat
	.protected	_ZN2ck27kernel_gemm_xdl_cshuffle_v3INS_28GridwiseGemm_xdl_cshuffle_v3INS_13tensor_layout4gemm8RowMajorENS3_11ColumnMajorES4_fffffNS_16tensor_operation12element_wise11PassThroughES8_S8_LNS6_6device18GemmSpecializationE0ELi128ELi64ELi64ELi64ELi4ELi4ELi16ELi16ELi2ELi4ENS_8SequenceIJLi4ELi32ELi1EEEENSB_IJLi1ELi0ELi2EEEESD_Li2ELi2ELi2ELb0ELi0ESC_SD_SD_Li2ELi2ELi2ELb0ELi0ELi1ELi2ENSB_IJLi1ELi32ELi1ELi4EEEELi2ELNS_26BlockGemmPipelineSchedulerE0ELNS_24BlockGemmPipelineVersionE2EffLb0ELb0ELb0ELi0ELb0EEELb1ELNS_25InMemoryDataOperationEnumE1ELi2ELNS_10TailNumberE10EEEvNT_8ArgumentE ; -- Begin function _ZN2ck27kernel_gemm_xdl_cshuffle_v3INS_28GridwiseGemm_xdl_cshuffle_v3INS_13tensor_layout4gemm8RowMajorENS3_11ColumnMajorES4_fffffNS_16tensor_operation12element_wise11PassThroughES8_S8_LNS6_6device18GemmSpecializationE0ELi128ELi64ELi64ELi64ELi4ELi4ELi16ELi16ELi2ELi4ENS_8SequenceIJLi4ELi32ELi1EEEENSB_IJLi1ELi0ELi2EEEESD_Li2ELi2ELi2ELb0ELi0ESC_SD_SD_Li2ELi2ELi2ELb0ELi0ELi1ELi2ENSB_IJLi1ELi32ELi1ELi4EEEELi2ELNS_26BlockGemmPipelineSchedulerE0ELNS_24BlockGemmPipelineVersionE2EffLb0ELb0ELb0ELi0ELb0EEELb1ELNS_25InMemoryDataOperationEnumE1ELi2ELNS_10TailNumberE10EEEvNT_8ArgumentE
	.globl	_ZN2ck27kernel_gemm_xdl_cshuffle_v3INS_28GridwiseGemm_xdl_cshuffle_v3INS_13tensor_layout4gemm8RowMajorENS3_11ColumnMajorES4_fffffNS_16tensor_operation12element_wise11PassThroughES8_S8_LNS6_6device18GemmSpecializationE0ELi128ELi64ELi64ELi64ELi4ELi4ELi16ELi16ELi2ELi4ENS_8SequenceIJLi4ELi32ELi1EEEENSB_IJLi1ELi0ELi2EEEESD_Li2ELi2ELi2ELb0ELi0ESC_SD_SD_Li2ELi2ELi2ELb0ELi0ELi1ELi2ENSB_IJLi1ELi32ELi1ELi4EEEELi2ELNS_26BlockGemmPipelineSchedulerE0ELNS_24BlockGemmPipelineVersionE2EffLb0ELb0ELb0ELi0ELb0EEELb1ELNS_25InMemoryDataOperationEnumE1ELi2ELNS_10TailNumberE10EEEvNT_8ArgumentE
	.p2align	8
	.type	_ZN2ck27kernel_gemm_xdl_cshuffle_v3INS_28GridwiseGemm_xdl_cshuffle_v3INS_13tensor_layout4gemm8RowMajorENS3_11ColumnMajorES4_fffffNS_16tensor_operation12element_wise11PassThroughES8_S8_LNS6_6device18GemmSpecializationE0ELi128ELi64ELi64ELi64ELi4ELi4ELi16ELi16ELi2ELi4ENS_8SequenceIJLi4ELi32ELi1EEEENSB_IJLi1ELi0ELi2EEEESD_Li2ELi2ELi2ELb0ELi0ESC_SD_SD_Li2ELi2ELi2ELb0ELi0ELi1ELi2ENSB_IJLi1ELi32ELi1ELi4EEEELi2ELNS_26BlockGemmPipelineSchedulerE0ELNS_24BlockGemmPipelineVersionE2EffLb0ELb0ELb0ELi0ELb0EEELb1ELNS_25InMemoryDataOperationEnumE1ELi2ELNS_10TailNumberE10EEEvNT_8ArgumentE,@function
_ZN2ck27kernel_gemm_xdl_cshuffle_v3INS_28GridwiseGemm_xdl_cshuffle_v3INS_13tensor_layout4gemm8RowMajorENS3_11ColumnMajorES4_fffffNS_16tensor_operation12element_wise11PassThroughES8_S8_LNS6_6device18GemmSpecializationE0ELi128ELi64ELi64ELi64ELi4ELi4ELi16ELi16ELi2ELi4ENS_8SequenceIJLi4ELi32ELi1EEEENSB_IJLi1ELi0ELi2EEEESD_Li2ELi2ELi2ELb0ELi0ESC_SD_SD_Li2ELi2ELi2ELb0ELi0ELi1ELi2ENSB_IJLi1ELi32ELi1ELi4EEEELi2ELNS_26BlockGemmPipelineSchedulerE0ELNS_24BlockGemmPipelineVersionE2EffLb0ELb0ELb0ELi0ELb0EEELb1ELNS_25InMemoryDataOperationEnumE1ELi2ELNS_10TailNumberE10EEEvNT_8ArgumentE: ; @_ZN2ck27kernel_gemm_xdl_cshuffle_v3INS_28GridwiseGemm_xdl_cshuffle_v3INS_13tensor_layout4gemm8RowMajorENS3_11ColumnMajorES4_fffffNS_16tensor_operation12element_wise11PassThroughES8_S8_LNS6_6device18GemmSpecializationE0ELi128ELi64ELi64ELi64ELi4ELi4ELi16ELi16ELi2ELi4ENS_8SequenceIJLi4ELi32ELi1EEEENSB_IJLi1ELi0ELi2EEEESD_Li2ELi2ELi2ELb0ELi0ESC_SD_SD_Li2ELi2ELi2ELb0ELi0ELi1ELi2ENSB_IJLi1ELi32ELi1ELi4EEEELi2ELNS_26BlockGemmPipelineSchedulerE0ELNS_24BlockGemmPipelineVersionE2EffLb0ELb0ELb0ELi0ELb0EEELb1ELNS_25InMemoryDataOperationEnumE1ELi2ELNS_10TailNumberE10EEEvNT_8ArgumentE
; %bb.0:
	s_load_dwordx8 s[16:23], s[4:5], 0x10
	s_load_dword s12, s[4:5], 0x68
	s_load_dwordx2 s[8:9], s[4:5], 0x60
	s_load_dwordx4 s[0:3], s[4:5], 0x50
	s_waitcnt lgkmcnt(0)
	s_cmp_gt_i32 s22, 1
	s_cselect_b64 s[10:11], -1, 0
	s_bitcmp1_b32 s12, 0
	s_cselect_b64 s[12:13], -1, 0
	s_and_b64 s[10:11], s[10:11], s[12:13]
	s_andn2_b64 vcc, exec, s[10:11]
	s_mov_b64 s[10:11], 0
	s_cbranch_vccnz .LBB1_2
; %bb.1:
	s_mul_i32 s10, s16, s7
	s_mul_i32 s10, s10, s17
	s_ashr_i32 s11, s10, 31
.LBB1_2:
	s_load_dword s13, s[4:5], 0x34
	s_load_dword s23, s[4:5], 0x3c
	s_add_i32 s4, s16, -1
	s_cmp_lt_u32 s4, 64
	s_mov_b32 s12, 0
	s_cbranch_scc1 .LBB1_10
; %bb.3:
	s_add_i32 s4, s17, -1
	s_cmp_lt_u32 s4, 64
	s_mov_b32 s4, 0
	s_cbranch_scc1 .LBB1_9
; %bb.4:
	s_add_i32 s4, s16, 63
	s_ashr_i32 s5, s4, 31
	s_lshr_b32 s5, s5, 26
	s_add_i32 s4, s4, s5
	s_ashr_i32 s14, s4, 6
	s_add_i32 s4, s17, 63
	s_ashr_i32 s5, s4, 31
	s_lshr_b32 s5, s5, 26
	s_add_i32 s4, s4, s5
	s_ashr_i32 s12, s4, 6
	s_mul_i32 s4, s12, s14
	s_add_i32 s5, s4, 7
	s_ashr_i32 s15, s5, 31
	s_lshr_b32 s15, s15, 29
	s_add_i32 s5, s5, s15
	s_ashr_i32 s15, s5, 3
	s_and_b32 s5, s5, -8
	s_sub_i32 s24, s4, s5
	s_ashr_i32 s4, s6, 31
	s_lshr_b32 s4, s4, 29
	s_add_i32 s26, s6, s4
	s_and_b32 s4, s26, -8
	s_add_i32 s24, s24, 8
	s_sub_i32 s25, s6, s4
	s_cmp_gt_i32 s25, s24
	s_cbranch_scc1 .LBB1_6
; %bb.5:
	s_mul_i32 s6, s15, s25
	s_ashr_i32 s4, s26, 3
	s_cbranch_execz .LBB1_7
	s_branch .LBB1_8
.LBB1_6:
                                        ; implicit-def: $sgpr6
	s_ashr_i32 s4, s26, 3
.LBB1_7:
	s_add_i32 s5, s15, -1
	s_mul_i32 s5, s5, s25
	s_add_i32 s6, s24, s5
.LBB1_8:
	s_abs_i32 s5, s12
	v_cvt_f32_u32_e32 v1, s5
	s_sub_i32 s24, 0, s5
	s_add_i32 s4, s6, s4
	s_abs_i32 s15, s4
	v_rcp_iflag_f32_e32 v1, v1
	s_xor_b32 s6, s4, s12
	s_ashr_i32 s6, s6, 31
	v_mul_f32_e32 v1, 0x4f7ffffe, v1
	v_cvt_u32_f32_e32 v1, v1
	v_readfirstlane_b32 s25, v1
	s_mul_i32 s24, s24, s25
	s_mul_hi_u32 s24, s25, s24
	s_add_i32 s25, s25, s24
	s_mul_hi_u32 s24, s15, s25
	s_mul_i32 s25, s24, s5
	s_sub_i32 s15, s15, s25
	s_add_i32 s26, s24, 1
	s_sub_i32 s25, s15, s5
	s_cmp_ge_u32 s15, s5
	s_cselect_b32 s24, s26, s24
	s_cselect_b32 s15, s25, s15
	s_add_i32 s25, s24, 1
	s_cmp_ge_u32 s15, s5
	s_cselect_b32 s5, s25, s24
	s_xor_b32 s5, s5, s6
	s_lshr_b32 s15, s14, 30
	s_sub_i32 s5, s5, s6
	s_add_i32 s15, s14, s15
	s_mul_i32 s6, s5, s12
	s_sub_i32 s4, s4, s6
	s_and_b32 s6, s15, -4
	s_sub_i32 s14, s14, s6
	s_cmp_ge_i32 s5, s6
	s_cselect_b32 s6, s14, 4
	s_abs_i32 s15, s6
	v_cvt_f32_u32_e32 v1, s15
	s_ashr_i32 s14, s5, 31
	s_lshr_b32 s14, s14, 30
	s_add_i32 s14, s5, s14
	v_rcp_iflag_f32_e32 v1, v1
	s_and_b32 s14, s14, -4
	s_sub_i32 s14, s5, s14
	s_sub_i32 s25, 0, s15
	v_mul_f32_e32 v1, 0x4f7ffffe, v1
	v_cvt_u32_f32_e32 v1, v1
	s_mul_i32 s12, s14, s12
	s_add_i32 s12, s12, s4
	s_abs_i32 s24, s12
	v_readfirstlane_b32 s26, v1
	s_mul_i32 s25, s25, s26
	s_mul_hi_u32 s25, s26, s25
	s_add_i32 s26, s26, s25
	s_mul_hi_u32 s25, s24, s26
	s_mul_i32 s26, s25, s15
	s_xor_b32 s4, s12, s6
	s_sub_i32 s24, s24, s26
	s_ashr_i32 s4, s4, 31
	s_add_i32 s26, s25, 1
	s_sub_i32 s27, s24, s15
	s_cmp_ge_u32 s24, s15
	s_cselect_b32 s25, s26, s25
	s_cselect_b32 s24, s27, s24
	s_add_i32 s26, s25, 1
	s_cmp_ge_u32 s24, s15
	s_cselect_b32 s15, s26, s25
	s_xor_b32 s15, s15, s4
	s_sub_i32 s4, s15, s4
	s_mul_i32 s6, s4, s6
	s_sub_i32 s6, s12, s6
	s_add_i32 s6, s6, s5
	s_sub_i32 s6, s6, s14
.LBB1_9:
	s_mov_b32 s12, s6
	s_mov_b32 s6, s4
.LBB1_10:
	s_waitcnt lgkmcnt(0)
	s_mul_i32 s4, s13, s7
	s_ashr_i32 s5, s4, 31
	s_lshl_b64 s[4:5], s[4:5], 2
	s_add_u32 s0, s0, s4
	s_addc_u32 s1, s1, s5
	s_add_u32 s4, s2, s4
	s_addc_u32 s5, s3, s5
	s_add_u32 s14, 0, 0
	s_addc_u32 s15, s16, -1
	s_add_u32 s3, 0, 0
	s_addc_u32 s3, s17, 0x3fffffff
	s_mul_i32 s24, s3, s20
	s_add_i32 s3, s22, -1
	s_mul_i32 s22, s3, s13
	s_sub_i32 s18, s18, s22
	s_cmp_lt_u32 s7, s3
	v_lshrrev_b32_e32 v163, 1, v0
	s_cselect_b32 s7, s13, s18
	s_lshl_b32 s3, s12, 6
	v_lshlrev_b32_e32 v1, 2, v0
	v_and_b32_e32 v164, 62, v163
	v_and_b32_e32 v194, 12, v1
	v_add_u32_e32 v1, s3, v164
	v_and_b32_e32 v72, 14, v163
	s_lshl_b32 s13, s6, 6
	v_mul_lo_u32 v162, v1, s19
	v_xor_b32_e32 v199, v72, v194
	v_lshlrev_b32_e32 v1, 6, v164
	v_lshl_or_b32 v73, v199, 2, v1
	v_add_u32_e32 v1, s13, v164
	v_lshlrev_b32_e32 v2, 2, v194
	v_mul_lo_u32 v165, v1, s20
	v_add_u32_e32 v3, v162, v2
	v_add_u32_e32 v74, v165, v2
	v_and_b32_e32 v1, 63, v0
	v_and_b32_e32 v2, 48, v0
	v_sub_u32_e32 v79, v1, v2
	v_lshrrev_b32_e32 v1, 2, v0
	v_and_b32_e32 v4, 16, v1
	v_add_u32_e32 v80, v79, v4
	v_lshrrev_b32_e32 v8, 2, v2
	v_lshrrev_b16_e32 v2, 12, v80
	v_add_u16_e32 v2, v80, v2
	v_and_b32_e32 v2, -16, v2
	v_sub_u16_e32 v9, v80, v2
	v_lshrrev_b16_e32 v2, 11, v79
	v_and_b32_e32 v2, 15, v2
	v_add_u16_e32 v2, v79, v2
	s_ashr_i32 s3, s23, 31
	v_and_b32_e32 v2, 0xf0, v2
	s_lshr_b32 s3, s3, 28
	v_sub_u16_e32 v6, v79, v2
	s_add_i32 s23, s23, s3
	s_mul_i32 s2, s15, s19
	v_xor_b32_sdwa v7, v8, sext(v9) dst_sel:DWORD dst_unused:UNUSED_PAD src0_sel:DWORD src1_sel:WORD_0
	v_xor_b32_sdwa v78, v8, sext(v6) dst_sel:DWORD dst_unused:UNUSED_PAD src0_sel:DWORD src1_sel:BYTE_0
	s_ashr_i32 s18, s23, 4
	; sched_barrier mask(0x00000000)
	v_add_u32_e32 v2, 12, v3
	s_add_i32 s2, s7, s2
	v_add_lshl_u32 v30, v2, s19, 2
	s_lshl_b32 s2, s2, 2
	s_mov_b32 s3, 0x20000
	v_lshlrev_b32_e32 v75, 2, v3
	v_subrev_u32_e32 v28, 40, v30
	buffer_load_dwordx4 v[10:13], v75, s[0:3], 0 offen
	v_subrev_u32_e32 v26, 32, v30
	v_subrev_u32_e32 v27, 24, v30
	v_add_lshl_u32 v29, v3, s19, 2
	buffer_load_dwordx2 v[16:17], v28, s[0:3], 0 offen
	buffer_load_dwordx2 v[14:15], v29, s[0:3], 0 offen
	;; [unrolled: 1-line block ×4, first 2 shown]
	buffer_load_dwordx4 v[18:21], v75, s[0:3], 0 offen offset:16
	buffer_load_dwordx4 v[22:25], v75, s[0:3], 0 offen offset:32
	v_add_u32_e32 v26, -8, v30
	v_add_u32_e32 v27, -16, v30
	buffer_load_dwordx2 v[52:53], v26, s[0:3], 0 offen
	buffer_load_dwordx2 v[54:55], v27, s[0:3], 0 offen
	v_lshlrev_b32_e32 v2, 2, v2
	buffer_load_dwordx4 v[26:29], v30, s[0:3], 0 offen
	buffer_load_dwordx2 v[56:57], v2, s[0:3], 0 offen
	buffer_load_dwordx2 v[58:59], v75, s[0:3], 0 offen offset:56
	v_add_u32_e32 v2, 12, v74
	s_add_i32 s7, s7, s24
	v_add_lshl_u32 v70, v2, s20, 2
	s_lshl_b32 s6, s7, 2
	s_mov_b32 s7, s3
	v_lshlrev_b32_e32 v76, 2, v74
	v_subrev_u32_e32 v38, 40, v70
	buffer_load_dwordx4 v[30:33], v76, s[4:7], 0 offen
	v_add_lshl_u32 v39, v74, s20, 2
	buffer_load_dwordx2 v[36:37], v38, s[4:7], 0 offen
	buffer_load_dwordx2 v[34:35], v39, s[4:7], 0 offen
	v_subrev_u32_e32 v46, 32, v70
	v_subrev_u32_e32 v47, 24, v70
	buffer_load_dwordx2 v[60:61], v46, s[4:7], 0 offen
	buffer_load_dwordx2 v[62:63], v47, s[4:7], 0 offen
	buffer_load_dwordx4 v[38:41], v76, s[4:7], 0 offen offset:16
	buffer_load_dwordx4 v[42:45], v76, s[4:7], 0 offen offset:32
	v_add_u32_e32 v71, -8, v70
	v_add_u32_e32 v77, -16, v70
	buffer_load_dwordx2 v[64:65], v71, s[4:7], 0 offen
	buffer_load_dwordx2 v[66:67], v77, s[4:7], 0 offen
	buffer_load_dwordx4 v[46:49], v70, s[4:7], 0 offen
	buffer_load_dwordx2 v[68:69], v76, s[4:7], 0 offen offset:56
	v_lshlrev_b32_e32 v2, 2, v2
	buffer_load_dwordx2 v[70:71], v2, s[4:7], 0 offen
	v_or_b32_e32 v81, 1, v72
	v_or_b32_e32 v195, 1, v194
	v_xor_b32_e32 v2, v81, v194
	v_add_u32_e32 v82, 0x4c, v3
	v_xor_b32_e32 v3, v81, v195
	v_sub_u32_e32 v87, v2, v199
	v_lshlrev_b32_e32 v77, 2, v73
	v_or_b32_e32 v196, 2, v194
	v_xor_b32_e32 v83, v195, v72
	v_lshlrev_b32_e32 v86, 2, v82
	v_sub_u32_e32 v88, v3, v2
	v_lshlrev_b32_e32 v90, 4, v87
	v_xor_b32_e32 v84, v196, v72
	v_sub_u32_e32 v89, v83, v3
	v_lshl_add_u32 v73, v87, 2, v73
	v_lshlrev_b32_e32 v87, 4, v88
	buffer_load_dwordx2 v[2:3], v86, s[0:3], 0 offen
	v_add_u32_e32 v86, v77, v90
	v_sub_u32_e32 v83, v84, v83
	v_lshlrev_b32_e32 v91, 4, v89
	v_lshl_add_u32 v73, v88, 2, v73
	v_add_u32_e32 v88, v86, v87
	v_lshlrev_b32_e32 v92, 4, v83
	v_lshl_add_u32 v73, v89, 2, v73
	v_add_u32_e32 v89, v88, v91
	v_or_b32_e32 v197, 3, v194
	v_xor_b32_e32 v85, v196, v81
	v_lshl_add_u32 v73, v83, 2, v73
	v_add_u32_e32 v83, v89, v92
	v_sub_u32_e32 v84, v85, v84
	v_xor_b32_e32 v167, v197, v72
	v_and_b32_e32 v198, 15, v0
	s_waitcnt vmcnt(24)
	ds_write_b128 v77, v[10:13]
	s_waitcnt vmcnt(22)
	ds_write_b128 v86, v[14:17] offset:256
	s_waitcnt vmcnt(20)
	ds_write2_b64 v88, v[4:5], v[50:51] offset0:32 offset1:33
	s_waitcnt vmcnt(19)
	ds_write2_b64 v89, v[18:19], v[20:21] offset1:1
	s_waitcnt vmcnt(18)
	ds_write2_b64 v83, v[22:23], v[24:25] offset1:1
	v_xor_b32_e32 v5, v81, v197
	v_sub_u32_e32 v10, v5, v85
	v_lshlrev_b32_e32 v4, 2, v84
	v_lshlrev_b32_e32 v11, 2, v10
	v_add3_u32 v166, v4, v73, v11
	v_lshlrev_b32_e32 v4, 4, v84
	v_add3_u32 v11, v83, 8, v4
	v_lshlrev_b32_e32 v10, 4, v10
	v_sub_u32_e32 v168, v167, v5
	s_waitcnt vmcnt(16)
	ds_write2_b64 v11, v[54:55], v[52:53] offset0:31 offset1:32
	v_add_u32_e32 v11, v11, v10
	v_lshlrev_b32_e32 v5, 4, v168
	s_waitcnt vmcnt(15)
	ds_write2_b64 v11, v[26:27], v[28:29] offset0:31 offset1:32
	v_add_u32_e32 v11, v11, v5
	s_waitcnt vmcnt(13)
	ds_write_b64 v11, v[58:59]
	v_add_u32_e32 v11, -8, v11
	ds_write_b64 v11, v[56:57]
	v_or_b32_e32 v11, 0x4000, v77
	v_add_u32_e32 v11, v11, v90
	v_add_u32_e32 v12, 0x4c, v74
	s_waitcnt vmcnt(12)
	ds_write_b128 v77, v[30:33] offset:16384
	v_lshlrev_b32_e32 v13, 2, v12
	s_waitcnt vmcnt(10)
	ds_write_b128 v11, v[34:37] offset:256
	v_add_u32_e32 v11, v11, v87
	buffer_load_dwordx2 v[14:15], v13, s[4:7], 0 offen
	v_add_u32_e32 v13, v11, v91
	s_waitcnt vmcnt(9)
	ds_write2_b64 v11, v[60:61], v[62:63] offset0:32 offset1:33
	s_waitcnt vmcnt(8)
	ds_write2_b64 v13, v[38:39], v[40:41] offset1:1
	v_add_u32_e32 v11, v13, v92
	s_waitcnt vmcnt(7)
	ds_write_b64 v11, v[42:43]
	v_add3_u32 v11, v13, 8, v92
	v_add_u32_e32 v4, v11, v4
	ds_write_b64 v11, v[44:45]
	s_waitcnt vmcnt(5)
	ds_write2_b64 v4, v[66:67], v[64:65] offset0:31 offset1:32
	v_add_u32_e32 v4, v4, v10
	s_waitcnt vmcnt(4)
	ds_write2_b64 v4, v[46:47], v[48:49] offset0:31 offset1:32
	v_add_u32_e32 v4, v4, v5
	s_waitcnt vmcnt(3)
	ds_write_b64 v4, v[68:69]
	v_add_u32_e32 v4, -8, v4
	v_add_lshl_u32 v10, v82, s19, 2
	s_waitcnt vmcnt(2)
	ds_write_b64 v4, v[70:71]
	v_add_u32_e32 v11, -8, v10
	buffer_load_dwordx4 v[30:33], v75, s[0:3], 0 offen offset:256
	buffer_load_dwordx4 v[22:25], v75, s[0:3], 0 offen offset:272
	;; [unrolled: 1-line block ×3, first 2 shown]
	buffer_load_dwordx2 v[4:5], v75, s[0:3], 0 offen offset:312
	buffer_load_dwordx4 v[50:53], v10, s[0:3], 0 offen
	buffer_load_dwordx2 v[48:49], v11, s[0:3], 0 offen
	v_add_u32_e32 v11, -16, v10
	v_subrev_u32_e32 v13, 32, v10
	v_subrev_u32_e32 v16, 24, v10
	;; [unrolled: 1-line block ×4, first 2 shown]
	buffer_load_dwordx2 v[46:47], v11, s[0:3], 0 offen
	buffer_load_dwordx2 v[62:63], v13, s[0:3], 0 offen
	;; [unrolled: 1-line block ×5, first 2 shown]
	buffer_load_dwordx4 v[34:37], v76, s[4:7], 0 offen offset:256
	buffer_load_dwordx4 v[38:41], v76, s[4:7], 0 offen offset:272
	;; [unrolled: 1-line block ×3, first 2 shown]
	s_nop 0
	buffer_load_dwordx2 v[16:17], v76, s[4:7], 0 offen offset:312
	v_add_lshl_u32 v10, v12, s20, 2
	v_add_u32_e32 v11, -8, v10
	buffer_load_dwordx4 v[58:61], v10, s[4:7], 0 offen
	buffer_load_dwordx2 v[56:57], v11, s[4:7], 0 offen
	v_add_u32_e32 v11, -16, v10
	v_subrev_u32_e32 v12, 32, v10
	v_subrev_u32_e32 v13, 24, v10
	;; [unrolled: 1-line block ×3, first 2 shown]
	buffer_load_dwordx2 v[54:55], v11, s[4:7], 0 offen
	buffer_load_dwordx2 v[74:75], v12, s[4:7], 0 offen
	;; [unrolled: 1-line block ×4, first 2 shown]
	v_subrev_u32_e32 v10, 48, v10
	buffer_load_dwordx2 v[70:71], v10, s[4:7], 0 offen
	v_add_u16_e32 v11, 32, v80
	v_ashrrev_i16_e32 v12, 15, v11
	v_lshrrev_b16_e32 v12, 12, v12
	v_add_u16_e32 v12, v11, v12
	v_add_u16_e32 v13, 16, v79
	v_mov_b32_e32 v18, 11
	v_and_b32_e32 v12, -16, v12
	v_lshrrev_b16_sdwa v19, v18, sext(v13) dst_sel:DWORD dst_unused:UNUSED_PAD src0_sel:DWORD src1_sel:BYTE_0
	v_sub_u16_e32 v11, v11, v12
	v_and_b32_e32 v19, 15, v19
	v_xor_b32_sdwa v12, v8, sext(v11) dst_sel:DWORD dst_unused:UNUSED_PAD src0_sel:DWORD src1_sel:WORD_0
	v_add_u16_e32 v19, v13, v19
	v_lshlrev_b32_e32 v10, 8, v80
	v_sub_u32_e32 v12, v12, v7
	v_and_b32_e32 v19, 0xf0, v19
	v_lshl_add_u32 v200, v7, 4, v10
	v_lshlrev_b32_e32 v12, 4, v12
	v_sub_u16_e32 v13, v13, v19
	v_add_u32_e32 v201, v200, v12
	v_lshlrev_b32_e32 v12, 8, v79
	v_xor_b32_sdwa v19, v8, sext(v13) dst_sel:DWORD dst_unused:UNUSED_PAD src0_sel:DWORD src1_sel:BYTE_0
	v_lshl_add_u32 v202, v78, 4, v12
	v_sub_u32_e32 v19, v19, v78
	v_add_u32_e32 v80, 0x4000, v202
	v_lshlrev_b32_e32 v203, 4, v19
	v_add_u32_e32 v19, v80, v203
	s_waitcnt lgkmcnt(0)
	s_barrier
	ds_read_b128 v[102:105], v200
	ds_read_b128 v[106:109], v202 offset:16384
	ds_read_b128 v[90:93], v201 offset:8192
	;; [unrolled: 1-line block ×3, first 2 shown]
	v_add_u16_e32 v19, 32, v79
	v_lshrrev_b16_sdwa v18, v18, sext(v19) dst_sel:DWORD dst_unused:UNUSED_PAD src0_sel:DWORD src1_sel:BYTE_0
	v_and_b32_e32 v18, 15, v18
	v_add_u16_e32 v18, v19, v18
	v_and_b32_e32 v18, 0xf0, v18
	v_sub_u16_e32 v79, v19, v18
	v_xor_b32_sdwa v18, v8, sext(v79) dst_sel:DWORD dst_unused:UNUSED_PAD src0_sel:DWORD src1_sel:BYTE_0
	v_sub_u32_e32 v18, v18, v78
	v_xor_b32_e32 v19, v8, v198
	v_lshlrev_b32_e32 v204, 4, v18
	v_sub_u32_e32 v19, v19, v78
	v_add_u32_e32 v18, v80, v204
	v_lshlrev_b32_e32 v205, 4, v19
	v_add_u32_e32 v19, v80, v205
	ds_read_b128 v[134:137], v18 offset:8192
	ds_read_b128 v[122:125], v19 offset:12288
	v_or_b32_e32 v18, 1, v8
	v_xor_b32_sdwa v19, v18, sext(v9) dst_sel:DWORD dst_unused:UNUSED_PAD src0_sel:DWORD src1_sel:WORD_0
	v_lshl_add_u32 v206, v19, 4, v10
	v_xor_b32_sdwa v19, v18, sext(v11) dst_sel:DWORD dst_unused:UNUSED_PAD src0_sel:DWORD src1_sel:WORD_0
	v_sub_u32_e32 v19, v19, v7
	v_lshlrev_b32_e32 v19, 4, v19
	v_add_u32_e32 v207, v200, v19
	v_xor_b32_sdwa v19, v18, sext(v6) dst_sel:DWORD dst_unused:UNUSED_PAD src0_sel:DWORD src1_sel:BYTE_0
	v_lshl_add_u32 v208, v19, 4, v12
	v_xor_b32_sdwa v19, v18, sext(v13) dst_sel:DWORD dst_unused:UNUSED_PAD src0_sel:DWORD src1_sel:BYTE_0
	v_sub_u32_e32 v19, v19, v78
	v_lshlrev_b32_e32 v209, 4, v19
	v_add_u32_e32 v19, v80, v209
	ds_read_b128 v[110:113], v206
	ds_read_b128 v[114:117], v208 offset:16384
	ds_read_b128 v[98:101], v207 offset:8192
	;; [unrolled: 1-line block ×3, first 2 shown]
	v_xor_b32_sdwa v19, v18, sext(v79) dst_sel:DWORD dst_unused:UNUSED_PAD src0_sel:DWORD src1_sel:BYTE_0
	v_xor_b32_e32 v18, v18, v198
	v_sub_u32_e32 v19, v19, v78
	v_sub_u32_e32 v18, v18, v78
	v_lshlrev_b32_e32 v210, 4, v19
	v_lshlrev_b32_e32 v211, 4, v18
	v_add_u32_e32 v19, v80, v210
	v_add_u32_e32 v18, v80, v211
	ds_read_b128 v[150:153], v19 offset:8192
	ds_read_b128 v[146:149], v18 offset:12288
	v_or_b32_e32 v18, 2, v8
	v_xor_b32_sdwa v19, v18, sext(v9) dst_sel:DWORD dst_unused:UNUSED_PAD src0_sel:DWORD src1_sel:WORD_0
	v_lshl_add_u32 v212, v19, 4, v10
	v_xor_b32_sdwa v19, v18, sext(v11) dst_sel:DWORD dst_unused:UNUSED_PAD src0_sel:DWORD src1_sel:WORD_0
	v_sub_u32_e32 v19, v19, v7
	v_lshlrev_b32_e32 v19, 4, v19
	v_add_u32_e32 v213, v200, v19
	v_xor_b32_sdwa v19, v18, sext(v6) dst_sel:DWORD dst_unused:UNUSED_PAD src0_sel:DWORD src1_sel:BYTE_0
	v_lshl_add_u32 v214, v19, 4, v12
	v_xor_b32_sdwa v19, v18, sext(v13) dst_sel:DWORD dst_unused:UNUSED_PAD src0_sel:DWORD src1_sel:BYTE_0
	v_sub_u32_e32 v19, v19, v78
	v_lshlrev_b32_e32 v215, 4, v19
	v_or_b32_e32 v81, 3, v8
	v_add_u32_e32 v19, v80, v215
	v_xor_b32_sdwa v8, v81, sext(v9) dst_sel:DWORD dst_unused:UNUSED_PAD src0_sel:DWORD src1_sel:WORD_0
	v_xor_b32_sdwa v6, v81, sext(v6) dst_sel:DWORD dst_unused:UNUSED_PAD src0_sel:DWORD src1_sel:BYTE_0
	ds_read_b128 v[130:133], v212
	ds_read_b128 v[142:145], v214 offset:16384
	ds_read_b128 v[94:97], v213 offset:8192
	;; [unrolled: 1-line block ×3, first 2 shown]
	v_xor_b32_sdwa v19, v18, sext(v79) dst_sel:DWORD dst_unused:UNUSED_PAD src0_sel:DWORD src1_sel:BYTE_0
	v_xor_b32_e32 v18, v18, v198
	v_lshl_add_u32 v218, v8, 4, v10
	v_xor_b32_sdwa v8, v81, sext(v11) dst_sel:DWORD dst_unused:UNUSED_PAD src0_sel:DWORD src1_sel:WORD_0
	v_lshl_add_u32 v220, v6, 4, v12
	v_xor_b32_sdwa v6, v81, sext(v13) dst_sel:DWORD dst_unused:UNUSED_PAD src0_sel:DWORD src1_sel:BYTE_0
	v_xor_b32_sdwa v79, v81, sext(v79) dst_sel:DWORD dst_unused:UNUSED_PAD src0_sel:DWORD src1_sel:BYTE_0
	v_xor_b32_e32 v81, v81, v198
	v_sub_u32_e32 v19, v19, v78
	v_sub_u32_e32 v18, v18, v78
	;; [unrolled: 1-line block ×6, first 2 shown]
	v_lshlrev_b32_e32 v216, 4, v19
	v_lshlrev_b32_e32 v217, 4, v18
	;; [unrolled: 1-line block ×6, first 2 shown]
	v_add_u32_e32 v19, v80, v216
	v_add_u32_e32 v18, v80, v217
	;; [unrolled: 1-line block ×6, first 2 shown]
	ds_read_b128 v[158:161], v19 offset:8192
	ds_read_b128 v[138:141], v18 offset:12288
	ds_read_b128 v[82:85], v218
	ds_read_b128 v[18:21], v220 offset:16384
	ds_read_b128 v[6:9], v219 offset:8192
	;; [unrolled: 1-line block ×5, first 2 shown]
	v_sub_u32_e32 v167, v199, v167
	v_lshlrev_b32_e32 v168, 2, v168
	v_lshlrev_b32_e32 v167, 2, v167
	v_add3_u32 v234, v166, v168, v167
	; sched_barrier mask(0x00000000)
	v_or_b32_e32 v224, 1, v163
	s_add_i32 s18, s18, -1
	v_sub_u32_e32 v163, v224, v164
	v_and_b32_e32 v164, 3, v0
	v_add_lshl_u32 v230, v162, s19, 2
	v_lshlrev_b32_e32 v231, 2, v162
	v_mov_b32_e32 v162, 0
	s_max_i32 s18, s18, 1
	v_lshlrev_b32_e32 v225, 6, v163
	v_lshlrev_b32_e32 v226, 6, v164
	v_add_lshl_u32 v227, v165, s20, 2
	v_lshlrev_b32_e32 v228, 2, v165
	v_add_u32_e32 v229, -1, v163
	v_not_b32_e32 v232, 63
	v_mov_b32_e32 v233, 0x4000
	v_mov_b32_e32 v235, v234
	v_mov_b32_e32 v163, v162
	v_mov_b32_e32 v164, v162
	v_mov_b32_e32 v165, v162
	v_mov_b32_e32 v166, v162
	v_mov_b32_e32 v167, v162
	v_mov_b32_e32 v168, v162
	v_mov_b32_e32 v169, v162
	v_mov_b32_e32 v190, v162
	v_mov_b32_e32 v191, v162
	v_mov_b32_e32 v192, v162
	v_mov_b32_e32 v193, v162
	v_mov_b32_e32 v186, v162
	v_mov_b32_e32 v187, v162
	v_mov_b32_e32 v188, v162
	v_mov_b32_e32 v189, v162
	v_mov_b32_e32 v170, v162
	v_mov_b32_e32 v171, v162
	v_mov_b32_e32 v172, v162
	v_mov_b32_e32 v173, v162
	v_mov_b32_e32 v174, v162
	v_mov_b32_e32 v175, v162
	v_mov_b32_e32 v176, v162
	v_mov_b32_e32 v177, v162
	v_mov_b32_e32 v178, v162
	v_mov_b32_e32 v179, v162
	v_mov_b32_e32 v180, v162
	v_mov_b32_e32 v181, v162
	v_mov_b32_e32 v182, v162
	v_mov_b32_e32 v183, v162
	v_mov_b32_e32 v184, v162
	v_mov_b32_e32 v185, v162
.LBB1_11:                               ; =>This Inner Loop Header: Depth=1
	v_lshlrev_b32_e32 v236, 2, v235
	v_add_u32_e32 v239, v226, v231
	s_waitcnt lgkmcnt(0)
	s_barrier
	s_waitcnt vmcnt(15)
	ds_write2_b64 v236, v[30:31], v[32:33] offset1:1
	buffer_load_dwordx4 v[30:33], v239, s[0:3], 0 offen offset:512
	v_mfma_f32_16x16x4f32 v[182:185], v102, v106, v[182:185]
	v_ashrrev_i32_e32 v237, 31, v224
	v_add_u32_e32 v238, -1, v224
	v_lshrrev_b32_e32 v237, 28, v237
	v_ashrrev_i32_e32 v240, 31, v238
	v_add_u32_e32 v237, v224, v237
	v_lshrrev_b32_e32 v240, 28, v240
	v_and_b32_e32 v237, -16, v237
	v_add_u32_e32 v240, v238, v240
	v_sub_u32_e32 v237, v224, v237
	v_mfma_f32_16x16x4f32 v[182:185], v103, v107, v[182:185]
	v_and_b32_e32 v240, -16, v240
	v_xor_b32_e32 v241, v237, v194
	v_xor_b32_e32 v242, v237, v195
	v_sub_u32_e32 v238, v238, v240
	v_sub_u32_e32 v199, v241, v199
	;; [unrolled: 1-line block ×3, first 2 shown]
	v_xor_b32_e32 v241, v238, v195
	v_lshl_add_u32 v199, v199, 2, v225
	v_sub_u32_e32 v242, v241, v242
	v_lshlrev_b32_e32 v244, 2, v199
	v_lshlrev_b32_e32 v243, 4, v240
	v_lshl_add_u32 v242, v242, 2, v232
	v_add_u32_e32 v236, v236, v244
	v_lshlrev_b32_e32 v245, 2, v242
	s_waitcnt vmcnt(12)
	ds_write2_b64 v236, v[66:67], v[68:69] offset1:1
	v_add_u32_e32 v66, v236, v243
	s_waitcnt vmcnt(11)
	ds_write2_b64 v66, v[62:63], v[64:65] offset1:1
	v_add_u32_e32 v66, v66, v245
	v_mfma_f32_16x16x4f32 v[182:185], v104, v108, v[182:185]
	ds_write2_b64 v66, v[22:23], v[24:25] offset1:1
	buffer_load_dwordx4 v[22:25], v239, s[0:3], 0 offen offset:528
	v_xor_b32_e32 v69, v238, v196
	v_xor_b32_e32 v67, v237, v196
	;; [unrolled: 1-line block ×3, first 2 shown]
	v_lshlrev_b32_e32 v237, 2, v240
	v_xor_b32_e32 v236, v238, v197
	v_mfma_f32_16x16x4f32 v[62:65], v102, v126, v[178:181]
	; sched_group_barrier mask(0x00000020) size(1) SyncID(0)
	; sched_group_barrier mask(0x00000008) size(3) SyncID(0)
	;; [unrolled: 1-line block ×3, first 2 shown]
	v_mfma_f32_16x16x4f32 v[62:65], v103, v127, v[62:65]
	v_mfma_f32_16x16x4f32 v[178:181], v105, v109, v[182:185]
	; sched_group_barrier mask(0x00000008) size(3) SyncID(0)
	s_nop 6
	v_sub_u32_e32 v183, v69, v241
	v_add3_u32 v185, v235, v199, v237
	v_lshlrev_b32_e32 v235, 4, v183
	v_sub_u32_e32 v182, v68, v67
	v_add_u32_e32 v246, v66, v235
	v_sub_u32_e32 v184, v67, v69
	v_lshlrev_b32_e32 v240, 2, v182
	v_lshlrev_b32_e32 v241, 4, v182
	v_sub_u32_e32 v182, v236, v68
	ds_write2_b64 v246, v[26:27], v[28:29] offset1:1
	buffer_load_dwordx4 v[26:29], v239, s[0:3], 0 offen offset:544
	v_mfma_f32_16x16x4f32 v[66:69], v102, v134, v[174:177]
	v_lshlrev_b32_e32 v247, 2, v183
	v_lshl_add_u32 v249, v184, 2, 64
	v_lshlrev_b32_e32 v248, 4, v184
	v_lshl_add_u32 v250, v182, 2, v232
	v_lshlrev_b32_e32 v251, 2, v249
	s_nop 1
	v_add3_u32 v174, v185, v242, v247
	v_add3_u32 v253, v174, v249, v240
	v_mfma_f32_16x16x4f32 v[62:65], v104, v128, v[62:65]
	v_lshlrev_b32_e32 v252, 2, v250
	v_lshlrev_b32_e32 v182, 2, v253
	v_add_u32_e32 v174, v246, v248
	v_add_u32_e32 v184, v246, v251
	v_add3_u32 v183, v182, 8, v252
	s_waitcnt vmcnt(12)
	ds_write_b64 v174, v[48:49] offset:264
	ds_write_b64 v184, v[46:47]
	v_add_u32_e32 v46, v184, v241
	s_waitcnt vmcnt(11)
	ds_write_b64 v46, v[50:51]
	ds_write_b64 v182, v[52:53] offset:8
	ds_write_b64 v183, v[4:5]
	v_add_u32_e32 v4, v46, v252
	v_mfma_f32_16x16x4f32 v[174:177], v105, v129, v[62:65]
	ds_write_b64 v4, v[2:3]
	buffer_load_dwordx4 v[2:5], v239, s[0:3], 0 offen offset:560
	v_add_u32_e32 v239, v226, v230
	; sched_group_barrier mask(0x00000020) size(1) SyncID(0)
	; sched_group_barrier mask(0x00000008) size(3) SyncID(0)
	; sched_group_barrier mask(0x00000020) size(1) SyncID(0)
	v_mfma_f32_16x16x4f32 v[46:49], v103, v135, v[66:69]
	v_mfma_f32_16x16x4f32 v[46:49], v104, v136, v[46:49]
	;; [unrolled: 1-line block ×3, first 2 shown]
	s_nop 4
	buffer_load_dwordx4 v[66:69], v239, s[0:3], 0 offen offset:512
	; sched_group_barrier mask(0x00000008) size(3) SyncID(0)
	; sched_group_barrier mask(0x00000020) size(1) SyncID(0)
	v_mfma_f32_16x16x4f32 v[46:49], v102, v122, v[170:173]
	v_mfma_f32_16x16x4f32 v[46:49], v103, v123, v[46:49]
	;; [unrolled: 1-line block ×3, first 2 shown]
	buffer_load_dwordx4 v[62:65], v239, s[0:3], 0 offen offset:528
	; sched_group_barrier mask(0x00000008) size(3) SyncID(0)
	; sched_group_barrier mask(0x00000020) size(1) SyncID(0)
	v_mfma_f32_16x16x4f32 v[50:53], v90, v106, v[186:189]
	v_mfma_f32_16x16x4f32 v[50:53], v91, v107, v[50:53]
	;; [unrolled: 1-line block ×3, first 2 shown]
	; sched_group_barrier mask(0x00000008) size(3) SyncID(0)
	s_nop 6
	buffer_load_dwordx4 v[46:49], v239, s[0:3], 0 offen offset:544
	v_mfma_f32_16x16x4f32 v[170:173], v90, v126, v[190:193]
	; sched_group_barrier mask(0x00000020) size(1) SyncID(0)
	v_mfma_f32_16x16x4f32 v[50:53], v92, v108, v[50:53]
	v_mfma_f32_16x16x4f32 v[106:109], v93, v109, v[50:53]
	; sched_group_barrier mask(0x00000008) size(3) SyncID(0)
	s_nop 7
	s_nop 1
	buffer_load_dwordx4 v[50:53], v239, s[0:3], 0 offen offset:560
	v_mfma_f32_16x16x4f32 v[170:173], v91, v127, v[170:173]
	; sched_group_barrier mask(0x00000020) size(1) SyncID(0)
	v_mfma_f32_16x16x4f32 v[170:173], v92, v128, v[170:173]
	v_mfma_f32_16x16x4f32 v[126:129], v93, v129, v[170:173]
	; sched_group_barrier mask(0x00000008) size(3) SyncID(0)
	s_nop 7
	s_nop 1
	v_lshlrev_b32_e32 v170, 2, v234
	v_add_u32_e32 v171, v226, v228
	v_add_u32_e32 v172, 0x4000, v170
	s_waitcnt vmcnt(15)
	ds_write2_b64 v172, v[34:35], v[36:37] offset1:1
	buffer_load_dwordx4 v[34:37], v171, s[4:7], 0 offen offset:512
	v_mfma_f32_16x16x4f32 v[166:169], v90, v134, v[166:169]
	v_add_u32_e32 v134, v199, v234
	v_add3_u32 v234, v134, v237, v242
	v_lshl_add_u32 v172, v234, 2, v233
	v_xor_b32_e32 v199, v238, v194
	v_add_u32_e32 v234, v234, v247
	v_add3_u32 v234, v234, v249, v240
	; sched_group_barrier mask(0x00000020) size(1) SyncID(0)
	v_mfma_f32_16x16x4f32 v[166:169], v91, v135, v[166:169]
	v_add_u32_e32 v135, v244, v170
	v_add_u32_e32 v170, v135, v243
	;; [unrolled: 1-line block ×4, first 2 shown]
	s_waitcnt vmcnt(9)
	ds_write2_b64 v134, v[70:71], v[72:73] offset1:1
	ds_write2_b64 v135, v[74:75], v[76:77] offset1:1
	;; [unrolled: 1-line block ×3, first 2 shown]
	v_mfma_f32_16x16x4f32 v[166:169], v92, v136, v[166:169]
	buffer_load_dwordx4 v[38:41], v171, s[4:7], 0 offen offset:528
	; sched_group_barrier mask(0x00000008) size(3) SyncID(0)
	; sched_group_barrier mask(0x00000020) size(1) SyncID(0)
	v_mfma_f32_16x16x4f32 v[70:73], v90, v122, v[162:165]
	v_add_u32_e32 v90, v172, v235
	ds_write2_b64 v90, v[42:43], v[44:45] offset1:1
	v_mfma_f32_16x16x4f32 v[70:73], v91, v123, v[70:73]
	v_add_u32_e32 v91, v170, v245
	v_add_u32_e32 v123, v90, v251
	v_add3_u32 v122, v91, v235, v248
	ds_write_b64 v122, v[56:57] offset:16648
	ds_write_b64 v123, v[54:55]
	v_add_u32_e32 v170, v226, v227
	v_mfma_f32_16x16x4f32 v[134:137], v93, v137, v[166:169]
	buffer_load_dwordx4 v[42:45], v171, s[4:7], 0 offen offset:544
	; sched_group_barrier mask(0x00000008) size(3) SyncID(0)
	; sched_group_barrier mask(0x00000020) size(1) SyncID(0)
	v_mfma_f32_16x16x4f32 v[70:73], v92, v124, v[70:73]
	v_mfma_f32_16x16x4f32 v[74:77], v110, v114, v[178:181]
	;; [unrolled: 1-line block ×3, first 2 shown]
	; sched_group_barrier mask(0x00000008) size(3) SyncID(0)
	s_nop 7
	s_nop 0
	v_add_u32_e32 v70, v123, v241
	v_add_u32_e32 v71, v70, v252
	ds_write2_b64 v70, v[58:59], v[60:61] offset1:1
	ds_write2_b64 v71, v[14:15], v[16:17] offset1:1
	buffer_load_dwordx4 v[14:17], v171, s[4:7], 0 offen offset:560
	v_mfma_f32_16x16x4f32 v[54:57], v111, v115, v[74:77]
	; sched_group_barrier mask(0x00000020) size(1) SyncID(0)
	v_mfma_f32_16x16x4f32 v[54:57], v112, v116, v[54:57]
	v_mfma_f32_16x16x4f32 v[122:125], v113, v117, v[54:57]
	buffer_load_dwordx4 v[70:73], v170, s[4:7], 0 offen offset:512
	; sched_group_barrier mask(0x00000008) size(3) SyncID(0)
	; sched_group_barrier mask(0x00000020) size(1) SyncID(0)
	v_mfma_f32_16x16x4f32 v[54:57], v110, v118, v[174:177]
	v_mfma_f32_16x16x4f32 v[54:57], v111, v119, v[54:57]
	;; [unrolled: 1-line block ×3, first 2 shown]
	s_nop 0
	buffer_load_dwordx4 v[74:77], v170, s[4:7], 0 offen offset:528
	; sched_group_barrier mask(0x00000008) size(3) SyncID(0)
	; sched_group_barrier mask(0x00000020) size(1) SyncID(0)
	v_mfma_f32_16x16x4f32 v[58:61], v110, v150, v[182:185]
	v_mfma_f32_16x16x4f32 v[58:61], v111, v151, v[58:61]
	;; [unrolled: 1-line block ×3, first 2 shown]
	; sched_group_barrier mask(0x00000008) size(3) SyncID(0)
	s_nop 6
	buffer_load_dwordx4 v[54:57], v170, s[4:7], 0 offen offset:544
	v_mfma_f32_16x16x4f32 v[102:105], v110, v146, v[102:105]
	; sched_group_barrier mask(0x00000020) size(1) SyncID(0)
	v_mfma_f32_16x16x4f32 v[58:61], v112, v152, v[58:61]
	v_mfma_f32_16x16x4f32 v[166:169], v113, v153, v[58:61]
	; sched_group_barrier mask(0x00000008) size(3) SyncID(0)
	s_nop 7
	s_nop 1
	buffer_load_dwordx4 v[58:61], v170, s[4:7], 0 offen offset:560
	v_mfma_f32_16x16x4f32 v[102:105], v111, v147, v[102:105]
	s_waitcnt lgkmcnt(0)
	s_barrier
	; sched_group_barrier mask(0x00000020) size(1) SyncID(0)
	v_mfma_f32_16x16x4f32 v[102:105], v112, v148, v[102:105]
	v_mfma_f32_16x16x4f32 v[102:105], v113, v149, v[102:105]
	; sched_group_barrier mask(0x00000008) size(3) SyncID(0)
	; sched_group_barrier mask(0x00000020) size(1) SyncID(0)
	v_mfma_f32_16x16x4f32 v[106:109], v98, v114, v[106:109]
	v_mfma_f32_16x16x4f32 v[106:109], v99, v115, v[106:109]
	v_mfma_f32_16x16x4f32 v[106:109], v100, v116, v[106:109]
	; sched_group_barrier mask(0x00000008) size(3) SyncID(0)
	; sched_group_barrier mask(0x00000020) size(1) SyncID(0)
	v_mfma_f32_16x16x4f32 v[110:113], v98, v118, v[126:129]
	;; [unrolled: 5-line block ×16, first 2 shown]
	v_mfma_f32_16x16x4f32 v[90:93], v96, v140, v[90:93]
	v_mfma_f32_16x16x4f32 v[106:109], v6, v86, v[102:105]
	; sched_group_barrier mask(0x00000008) size(3) SyncID(0)
	v_mfma_f32_16x16x4f32 v[190:193], v6, v10, v[190:193]
	s_nop 6
	ds_read_b128 v[102:105], v200
	; sched_group_barrier mask(0x00000100) size(1) SyncID(0)
	v_mfma_f32_16x16x4f32 v[94:97], v97, v141, v[90:93]
	; sched_group_barrier mask(0x00000008) size(1) SyncID(0)
	v_mfma_f32_16x16x4f32 v[190:193], v7, v11, v[190:193]
	s_nop 5
	ds_read_b128 v[90:93], v201 offset:8192
	; sched_group_barrier mask(0x00000100) size(1) SyncID(0)
	v_mfma_f32_16x16x4f32 v[98:101], v82, v18, v[98:101]
	ds_read_b128 v[114:117], v208 offset:16384
	; sched_group_barrier mask(0x00000008) size(1) SyncID(0)
	; sched_group_barrier mask(0x00000100) size(1) SyncID(0)
	v_mfma_f32_16x16x4f32 v[106:109], v7, v87, v[106:109]
	ds_read_b128 v[130:133], v212
	; sched_group_barrier mask(0x00000008) size(1) SyncID(0)
	; sched_group_barrier mask(0x00000100) size(1) SyncID(0)
	v_mfma_f32_16x16x4f32 v[98:101], v83, v19, v[98:101]
	ds_read_b128 v[142:145], v214 offset:16384
	; sched_group_barrier mask(0x00000008) size(1) SyncID(0)
	; sched_group_barrier mask(0x00000100) size(1) SyncID(0)
	v_mfma_f32_16x16x4f32 v[110:113], v8, v88, v[106:109]
	; sched_group_barrier mask(0x00000008) size(1) SyncID(0)
	v_mfma_f32_16x16x4f32 v[190:193], v8, v12, v[190:193]
	s_nop 5
	ds_read_b128 v[106:109], v202 offset:16384
	; sched_group_barrier mask(0x00000100) size(1) SyncID(0)
	v_mfma_f32_16x16x4f32 v[94:97], v6, v78, v[94:97]
	; sched_group_barrier mask(0x00000008) size(1) SyncID(0)
	v_mfma_f32_16x16x4f32 v[98:101], v84, v20, v[98:101]
	v_mfma_f32_16x16x4f32 v[166:169], v9, v89, v[110:113]
	;; [unrolled: 1-line block ×3, first 2 shown]
	s_nop 5
	v_add_u32_e32 v110, v202, v203
	v_mfma_f32_16x16x4f32 v[182:185], v85, v21, v[98:101]
	s_nop 6
	v_add_u32_e32 v98, v202, v204
	ds_read_b128 v[134:137], v98 offset:24576
	v_mfma_f32_16x16x4f32 v[98:101], v82, v10, v[118:121]
	v_mfma_f32_16x16x4f32 v[94:97], v8, v80, v[94:97]
	;; [unrolled: 1-line block ×7, first 2 shown]
	v_add_u32_e32 v86, v202, v209
	ds_read_b128 v[118:121], v86 offset:20480
	v_add_u32_e32 v86, v202, v210
	v_mfma_f32_16x16x4f32 v[94:97], v83, v87, v[94:97]
	ds_read_b128 v[150:153], v86 offset:24576
	v_add_u32_e32 v86, v202, v211
	v_mfma_f32_16x16x4f32 v[94:97], v84, v88, v[94:97]
	ds_read_b128 v[146:149], v86 offset:28672
	v_mfma_f32_16x16x4f32 v[174:177], v85, v89, v[94:97]
	v_mfma_f32_16x16x4f32 v[86:89], v82, v78, v[170:173]
	v_add_u32_e32 v78, v202, v215
	ds_read_b128 v[154:157], v78 offset:20480
	v_add_u32_e32 v78, v202, v216
	v_mfma_f32_16x16x4f32 v[86:89], v83, v79, v[86:89]
	ds_read_b128 v[158:161], v78 offset:24576
	v_mfma_f32_16x16x4f32 v[86:89], v84, v80, v[86:89]
	v_mfma_f32_16x16x4f32 v[170:173], v85, v81, v[86:89]
	;; [unrolled: 1-line block ×3, first 2 shown]
	v_add_u32_e32 v6, v202, v223
	v_add_u32_e32 v18, v202, v217
	v_mfma_f32_16x16x4f32 v[78:81], v7, v19, v[78:81]
	v_sub_u32_e32 v7, v199, v236
	v_lshlrev_b32_e32 v236, 2, v7
	v_add3_u32 v235, v253, v250, v236
	v_add3_u32 v234, v234, v250, v236
	v_mfma_f32_16x16x4f32 v[78:81], v8, v20, v[78:81]
	v_mfma_f32_16x16x4f32 v[186:189], v9, v21, v[78:81]
	s_nop 7
	s_nop 1
	ds_read_b128 v[78:81], v6 offset:28672
	v_add_u32_e32 v6, v202, v221
	v_mfma_f32_16x16x4f32 v[190:193], v9, v13, v[190:193]
	ds_read_b128 v[10:13], v6 offset:20480
	ds_read_b128 v[6:9], v219 offset:8192
	;; [unrolled: 1-line block ×3, first 2 shown]
	v_add_u32_e32 v110, v202, v205
	ds_read_b128 v[122:125], v110 offset:28672
	ds_read_b128 v[110:113], v206
	ds_read_b128 v[138:141], v18 offset:28672
	v_add_u32_e32 v18, v202, v222
	ds_read_b128 v[86:89], v18 offset:24576
	ds_read_b128 v[18:21], v220 offset:16384
	;; [unrolled: 1-line block ×3, first 2 shown]
	ds_read_b128 v[82:85], v218
	ds_read_b128 v[94:97], v213 offset:8192
	; sched_group_barrier mask(0x00000100) size(1) SyncID(0)
	; sched_group_barrier mask(0x00000008) size(1) SyncID(0)
	;; [unrolled: 1-line block ×36, first 2 shown]
	; sched_barrier mask(0x00000000)
	s_add_i32 s18, s18, -1
	v_add_u32_e32 v227, 0x100, v227
	v_add_u32_e32 v228, 0x100, v228
	;; [unrolled: 1-line block ×4, first 2 shown]
	s_cmp_lg_u32 s18, 0
	v_add_u32_e32 v231, 0x100, v231
	s_cbranch_scc1 .LBB1_11
; %bb.12:
	s_waitcnt vmcnt(12) lgkmcnt(14)
	v_mfma_f32_16x16x4f32 v[2:5], v102, v106, v[182:185]
	s_lshl_b64 s[0:1], s[10:11], 2
	s_add_u32 s24, s8, s0
	s_mul_i32 s15, s15, s21
	s_mul_hi_u32 s0, s14, s21
	s_addc_u32 s25, s9, s1
	s_add_i32 s2, s0, s15
	v_lshlrev_b32_e32 v0, 3, v0
	s_waitcnt vmcnt(4) lgkmcnt(8)
	v_mfma_f32_16x16x4f32 v[14:17], v102, v126, v[178:181]
	s_movk_i32 s0, 0x380
	v_and_or_b32 v47, v0, s0, v198
	v_and_b32_e32 v0, 24, v0
	v_or_b32_e32 v46, s13, v0
	v_lshl_or_b32 v50, s12, 6, v1
	v_mad_u64_u32 v[48:49], s[0:1], v50, s21, v[46:47]
	v_mfma_f32_16x16x4f32 v[2:5], v103, v107, v[2:5]
	v_lshlrev_b32_e32 v0, 2, v0
	v_lshlrev_b32_e32 v47, 2, v47
	v_lshl_or_b32 v49, v1, 7, v0
	s_waitcnt lgkmcnt(0)
	s_barrier
	v_cmp_gt_i32_e32 vcc, s17, v46
	v_cmp_gt_i32_e64 s[6:7], s16, v50
	v_mfma_f32_16x16x4f32 v[14:17], v103, v127, v[14:17]
	s_add_i32 s0, s17, s2
	s_lshl_b32 s26, s0, 2
	v_bfrev_b32_e32 v52, 1
	s_and_b64 s[0:1], s[6:7], vcc
	v_lshlrev_b32_e32 v51, 2, v48
	s_mov_b32 s27, 0x20000
	v_mfma_f32_16x16x4f32 v[2:5], v104, v108, v[2:5]
	v_mfma_f32_16x16x4f32 v[14:17], v104, v128, v[14:17]
	;; [unrolled: 1-line block ×85, first 2 shown]
	s_nop 7
	s_nop 1
	ds_write2_b32 v47, v5, v17 offset0:96 offset1:112
	ds_write2_b32 v47, v4, v16 offset0:64 offset1:80
	;; [unrolled: 1-line block ×3, first 2 shown]
	ds_write2_b32 v47, v2, v14 offset1:16
	s_waitcnt lgkmcnt(0)
	s_barrier
	ds_read_b64 v[4:5], v49
	v_cndmask_b32_e64 v14, v52, 0, s[0:1]
	v_add_u32_e32 v14, v14, v51
	v_mfma_f32_16x16x4f32 v[30:33], v96, v144, v[30:33]
	s_waitcnt lgkmcnt(0)
	buffer_atomic_add_f32 v4, v14, s[24:27], 0 offen
	buffer_atomic_add_f32 v5, v14, s[24:27], 4 offen
	ds_read_b64 v[4:5], v49 offset:8
	v_mfma_f32_16x16x4f32 v[34:37], v93, v129, v[34:37]
	v_mfma_f32_16x16x4f32 v[26:29], v83, v79, v[26:29]
	;; [unrolled: 1-line block ×8, first 2 shown]
	s_nop 6
	v_or_b32_e32 v26, 2, v46
	v_cmp_gt_i32_e64 s[0:1], s17, v26
	v_mfma_f32_16x16x4f32 v[38:41], v96, v160, v[38:41]
	s_and_b64 s[2:3], s[6:7], s[0:1]
	v_mfma_f32_16x16x4f32 v[42:45], v96, v140, v[42:45]
	v_mfma_f32_16x16x4f32 v[22:25], v84, v88, v[22:25]
	;; [unrolled: 1-line block ×3, first 2 shown]
	v_cndmask_b32_e64 v18, v52, 0, s[2:3]
	v_add_u32_e32 v18, v51, v18
	s_waitcnt lgkmcnt(0)
	buffer_atomic_add_f32 v4, v18, s[24:27], 0 offen offset:8
	buffer_atomic_add_f32 v5, v18, s[24:27], 4 offen offset:8
	v_or_b32_e32 v18, 4, v46
	ds_read_b64 v[4:5], v49 offset:16
	v_cmp_gt_i32_e64 s[2:3], s17, v18
	s_and_b64 s[4:5], s[6:7], s[2:3]
	v_mfma_f32_16x16x4f32 v[34:37], v99, v119, v[34:37]
	v_cndmask_b32_e64 v18, v52, 0, s[4:5]
	v_add_u32_e32 v18, v51, v18
	s_waitcnt lgkmcnt(0)
	buffer_atomic_add_f32 v4, v18, s[24:27], 0 offen offset:16
	buffer_atomic_add_f32 v5, v18, s[24:27], 4 offen offset:16
	v_or_b32_e32 v18, 6, v46
	ds_read_b64 v[4:5], v49 offset:24
	v_cmp_gt_i32_e64 s[4:5], s17, v18
	v_mfma_f32_16x16x4f32 v[38:41], v97, v161, v[38:41]
	s_and_b64 s[8:9], s[6:7], s[4:5]
	v_cndmask_b32_e64 v18, v52, 0, s[8:9]
	v_add_u32_e32 v18, v51, v18
	s_waitcnt lgkmcnt(0)
	buffer_atomic_add_f32 v4, v18, s[24:27], 0 offen offset:24
	buffer_atomic_add_f32 v5, v18, s[24:27], 4 offen offset:24
	s_waitcnt lgkmcnt(0)
	s_barrier
	v_or_b32_e32 v18, 32, v46
	v_mfma_f32_16x16x4f32 v[42:45], v97, v141, v[42:45]
	v_cmp_gt_i32_e64 s[8:9], s17, v18
	s_and_b64 s[10:11], s[6:7], s[8:9]
	v_cndmask_b32_e64 v18, v52, 0, s[10:11]
	v_mfma_f32_16x16x4f32 v[22:25], v85, v89, v[22:25]
	v_mfma_f32_16x16x4f32 v[0:3], v85, v81, v[0:3]
	;; [unrolled: 1-line block ×3, first 2 shown]
	s_nop 7
	s_nop 1
	ds_write2_b32 v47, v25, v3 offset0:96 offset1:112
	ds_write2_b32 v47, v24, v2 offset0:64 offset1:80
	;; [unrolled: 1-line block ×3, first 2 shown]
	ds_write2_b32 v47, v22, v0 offset1:16
	s_waitcnt lgkmcnt(0)
	s_barrier
	ds_read_b64 v[4:5], v49
	v_mfma_f32_16x16x4f32 v[26:29], v6, v86, v[38:41]
	v_mfma_f32_16x16x4f32 v[22:25], v6, v78, v[42:45]
	;; [unrolled: 1-line block ×7, first 2 shown]
	v_add_u32_e32 v19, 32, v48
	v_lshl_add_u32 v18, v19, 2, v18
	s_waitcnt lgkmcnt(0)
	buffer_atomic_add_f32 v4, v18, s[24:27], 0 offen
	buffer_atomic_add_f32 v5, v18, s[24:27], 4 offen
	v_or_b32_e32 v18, 34, v46
	ds_read_b64 v[4:5], v49 offset:8
	v_cmp_gt_i32_e64 s[10:11], s17, v18
	s_and_b64 s[12:13], s[6:7], s[10:11]
	v_mfma_f32_16x16x4f32 v[26:29], v8, v88, v[26:29]
	v_cndmask_b32_e64 v18, v52, 0, s[12:13]
	v_add_u32_e32 v18, v51, v18
	s_waitcnt lgkmcnt(0)
	buffer_atomic_add_f32 v4, v18, s[24:27], 0 offen offset:136
	buffer_atomic_add_f32 v5, v18, s[24:27], 4 offen offset:136
	v_or_b32_e32 v18, 36, v46
	ds_read_b64 v[4:5], v49 offset:16
	v_cmp_gt_i32_e64 s[12:13], s17, v18
	s_and_b64 s[14:15], s[6:7], s[12:13]
	v_mfma_f32_16x16x4f32 v[22:25], v8, v80, v[22:25]
	v_cndmask_b32_e64 v18, v52, 0, s[14:15]
	v_add_u32_e32 v18, v51, v18
	s_waitcnt lgkmcnt(0)
	buffer_atomic_add_f32 v4, v18, s[24:27], 0 offen offset:144
	buffer_atomic_add_f32 v5, v18, s[24:27], 4 offen offset:144
	;; [unrolled: 10-line block ×3, first 2 shown]
	s_waitcnt lgkmcnt(0)
	s_barrier
	v_or_b32_e32 v18, 32, v50
	v_mfma_f32_16x16x4f32 v[0:3], v9, v89, v[26:29]
	v_cmp_gt_i32_e64 s[6:7], s16, v18
	s_lshl_b32 s17, s21, 5
	s_and_b64 s[8:9], s[6:7], s[8:9]
	v_mov_b32_e32 v18, 0x80000008
	s_and_b64 s[0:1], s[6:7], s[0:1]
	v_mfma_f32_16x16x4f32 v[22:25], v9, v81, v[22:25]
	s_nop 7
	s_nop 2
	ds_write2_b32 v47, v3, v25 offset0:96 offset1:112
	ds_write2_b32 v47, v2, v24 offset0:64 offset1:80
	v_mfma_f32_16x16x4f32 v[34:37], v96, v156, v[34:37]
	ds_write2_b32 v47, v1, v23 offset0:32 offset1:48
	ds_write2_b32 v47, v0, v22 offset1:16
	s_waitcnt lgkmcnt(0)
	s_barrier
	v_mfma_f32_16x16x4f32 v[2:5], v8, v20, v[14:17]
	v_add_lshl_u32 v20, v19, s17, 2
	v_mfma_f32_16x16x4f32 v[34:37], v97, v157, v[34:37]
	s_nop 4
	ds_read_b64 v[14:15], v49
	v_mfma_f32_16x16x4f32 v[0:3], v9, v21, v[2:5]
	s_nop 6
	v_cndmask_b32_e64 v4, v52, 0, s[8:9]
	v_add_u32_e32 v4, v20, v4
	s_waitcnt lgkmcnt(0)
	buffer_atomic_add_f32 v14, v4, s[24:27], 0 offen
	buffer_atomic_add_f32 v15, v4, s[24:27], 4 offen
	v_mfma_f32_16x16x4f32 v[14:17], v6, v10, v[34:37]
	ds_read_b64 v[4:5], v49 offset:8
	s_and_b64 s[8:9], s[6:7], s[10:11]
	v_cndmask_b32_e64 v6, v18, 8, s[8:9]
	v_add_u32_e32 v6, v20, v6
	s_waitcnt lgkmcnt(0)
	buffer_atomic_add_f32 v4, v6, s[24:27], 0 offen
	buffer_atomic_add_f32 v5, v6, s[24:27], 4 offen
	ds_read_b64 v[18:19], v49 offset:16
	v_mfma_f32_16x16x4f32 v[4:7], v7, v11, v[14:17]
	v_mov_b32_e32 v10, 0x80000010
	s_and_b64 s[8:9], s[6:7], s[12:13]
	v_cndmask_b32_e64 v10, v10, 16, s[8:9]
	v_add_u32_e32 v10, v20, v10
	s_waitcnt lgkmcnt(0)
	buffer_atomic_add_f32 v18, v10, s[24:27], 0 offen
	buffer_atomic_add_f32 v19, v10, s[24:27], 4 offen
	ds_read_b64 v[10:11], v49 offset:24
	v_mov_b32_e32 v14, 0x80000018
	v_mfma_f32_16x16x4f32 v[4:7], v8, v12, v[4:7]
	s_and_b64 s[8:9], s[6:7], s[14:15]
	v_cndmask_b32_e64 v8, v14, 24, s[8:9]
	v_add_u32_e32 v8, v20, v8
	s_waitcnt lgkmcnt(0)
	buffer_atomic_add_f32 v10, v8, s[24:27], 0 offen
	buffer_atomic_add_f32 v11, v8, s[24:27], 4 offen
	s_waitcnt lgkmcnt(0)
	s_barrier
	s_and_b64 s[8:9], vcc, s[6:7]
	v_mfma_f32_16x16x4f32 v[4:7], v9, v13, v[4:7]
	s_nop 7
	s_nop 2
	ds_write2_b32 v47, v3, v7 offset0:96 offset1:112
	ds_write2_b32 v47, v2, v6 offset0:64 offset1:80
	;; [unrolled: 1-line block ×3, first 2 shown]
	ds_write2_b32 v47, v0, v4 offset1:16
	s_waitcnt lgkmcnt(0)
	s_barrier
	ds_read_b64 v[0:1], v49
	v_add_lshl_u32 v2, v48, s17, 2
	v_cndmask_b32_e64 v3, v52, 0, s[8:9]
	v_add_u32_e32 v3, v3, v2
	s_waitcnt lgkmcnt(0)
	buffer_atomic_add_f32 v0, v3, s[24:27], 0 offen
	buffer_atomic_add_f32 v1, v3, s[24:27], 4 offen
	ds_read_b64 v[0:1], v49 offset:8
	v_cndmask_b32_e64 v3, v52, 0, s[0:1]
	v_add_u32_e32 v3, v2, v3
	s_waitcnt lgkmcnt(0)
	buffer_atomic_add_f32 v0, v3, s[24:27], 0 offen offset:8
	buffer_atomic_add_f32 v1, v3, s[24:27], 4 offen offset:8
	ds_read_b64 v[0:1], v49 offset:16
	s_and_b64 s[0:1], s[6:7], s[2:3]
	v_cndmask_b32_e64 v3, v52, 0, s[0:1]
	v_add_u32_e32 v3, v2, v3
	s_waitcnt lgkmcnt(0)
	buffer_atomic_add_f32 v0, v3, s[24:27], 0 offen offset:16
	buffer_atomic_add_f32 v1, v3, s[24:27], 4 offen offset:16
	ds_read_b64 v[0:1], v49 offset:24
	s_and_b64 s[0:1], s[6:7], s[4:5]
	v_cndmask_b32_e64 v3, v52, 0, s[0:1]
	v_add_u32_e32 v2, v2, v3
	s_waitcnt lgkmcnt(0)
	buffer_atomic_add_f32 v0, v2, s[24:27], 0 offen offset:24
	buffer_atomic_add_f32 v1, v2, s[24:27], 4 offen offset:24
	s_endpgm
	.section	.rodata,"a",@progbits
	.p2align	6, 0x0
	.amdhsa_kernel _ZN2ck27kernel_gemm_xdl_cshuffle_v3INS_28GridwiseGemm_xdl_cshuffle_v3INS_13tensor_layout4gemm8RowMajorENS3_11ColumnMajorES4_fffffNS_16tensor_operation12element_wise11PassThroughES8_S8_LNS6_6device18GemmSpecializationE0ELi128ELi64ELi64ELi64ELi4ELi4ELi16ELi16ELi2ELi4ENS_8SequenceIJLi4ELi32ELi1EEEENSB_IJLi1ELi0ELi2EEEESD_Li2ELi2ELi2ELb0ELi0ESC_SD_SD_Li2ELi2ELi2ELb0ELi0ELi1ELi2ENSB_IJLi1ELi32ELi1ELi4EEEELi2ELNS_26BlockGemmPipelineSchedulerE0ELNS_24BlockGemmPipelineVersionE2EffLb0ELb0ELb0ELi0ELb0EEELb1ELNS_25InMemoryDataOperationEnumE1ELi2ELNS_10TailNumberE10EEEvNT_8ArgumentE
		.amdhsa_group_segment_fixed_size 32768
		.amdhsa_private_segment_fixed_size 0
		.amdhsa_kernarg_size 112
		.amdhsa_user_sgpr_count 6
		.amdhsa_user_sgpr_private_segment_buffer 1
		.amdhsa_user_sgpr_dispatch_ptr 0
		.amdhsa_user_sgpr_queue_ptr 0
		.amdhsa_user_sgpr_kernarg_segment_ptr 1
		.amdhsa_user_sgpr_dispatch_id 0
		.amdhsa_user_sgpr_flat_scratch_init 0
		.amdhsa_user_sgpr_kernarg_preload_length 0
		.amdhsa_user_sgpr_kernarg_preload_offset 0
		.amdhsa_user_sgpr_private_segment_size 0
		.amdhsa_uses_dynamic_stack 0
		.amdhsa_system_sgpr_private_segment_wavefront_offset 0
		.amdhsa_system_sgpr_workgroup_id_x 1
		.amdhsa_system_sgpr_workgroup_id_y 0
		.amdhsa_system_sgpr_workgroup_id_z 1
		.amdhsa_system_sgpr_workgroup_info 0
		.amdhsa_system_vgpr_workitem_id 0
		.amdhsa_next_free_vgpr 254
		.amdhsa_next_free_sgpr 28
		.amdhsa_accum_offset 256
		.amdhsa_reserve_vcc 1
		.amdhsa_reserve_flat_scratch 0
		.amdhsa_float_round_mode_32 0
		.amdhsa_float_round_mode_16_64 0
		.amdhsa_float_denorm_mode_32 3
		.amdhsa_float_denorm_mode_16_64 3
		.amdhsa_dx10_clamp 1
		.amdhsa_ieee_mode 1
		.amdhsa_fp16_overflow 0
		.amdhsa_tg_split 0
		.amdhsa_exception_fp_ieee_invalid_op 0
		.amdhsa_exception_fp_denorm_src 0
		.amdhsa_exception_fp_ieee_div_zero 0
		.amdhsa_exception_fp_ieee_overflow 0
		.amdhsa_exception_fp_ieee_underflow 0
		.amdhsa_exception_fp_ieee_inexact 0
		.amdhsa_exception_int_div_zero 0
	.end_amdhsa_kernel
	.section	.text._ZN2ck27kernel_gemm_xdl_cshuffle_v3INS_28GridwiseGemm_xdl_cshuffle_v3INS_13tensor_layout4gemm8RowMajorENS3_11ColumnMajorES4_fffffNS_16tensor_operation12element_wise11PassThroughES8_S8_LNS6_6device18GemmSpecializationE0ELi128ELi64ELi64ELi64ELi4ELi4ELi16ELi16ELi2ELi4ENS_8SequenceIJLi4ELi32ELi1EEEENSB_IJLi1ELi0ELi2EEEESD_Li2ELi2ELi2ELb0ELi0ESC_SD_SD_Li2ELi2ELi2ELb0ELi0ELi1ELi2ENSB_IJLi1ELi32ELi1ELi4EEEELi2ELNS_26BlockGemmPipelineSchedulerE0ELNS_24BlockGemmPipelineVersionE2EffLb0ELb0ELb0ELi0ELb0EEELb1ELNS_25InMemoryDataOperationEnumE1ELi2ELNS_10TailNumberE10EEEvNT_8ArgumentE,"axG",@progbits,_ZN2ck27kernel_gemm_xdl_cshuffle_v3INS_28GridwiseGemm_xdl_cshuffle_v3INS_13tensor_layout4gemm8RowMajorENS3_11ColumnMajorES4_fffffNS_16tensor_operation12element_wise11PassThroughES8_S8_LNS6_6device18GemmSpecializationE0ELi128ELi64ELi64ELi64ELi4ELi4ELi16ELi16ELi2ELi4ENS_8SequenceIJLi4ELi32ELi1EEEENSB_IJLi1ELi0ELi2EEEESD_Li2ELi2ELi2ELb0ELi0ESC_SD_SD_Li2ELi2ELi2ELb0ELi0ELi1ELi2ENSB_IJLi1ELi32ELi1ELi4EEEELi2ELNS_26BlockGemmPipelineSchedulerE0ELNS_24BlockGemmPipelineVersionE2EffLb0ELb0ELb0ELi0ELb0EEELb1ELNS_25InMemoryDataOperationEnumE1ELi2ELNS_10TailNumberE10EEEvNT_8ArgumentE,comdat
.Lfunc_end1:
	.size	_ZN2ck27kernel_gemm_xdl_cshuffle_v3INS_28GridwiseGemm_xdl_cshuffle_v3INS_13tensor_layout4gemm8RowMajorENS3_11ColumnMajorES4_fffffNS_16tensor_operation12element_wise11PassThroughES8_S8_LNS6_6device18GemmSpecializationE0ELi128ELi64ELi64ELi64ELi4ELi4ELi16ELi16ELi2ELi4ENS_8SequenceIJLi4ELi32ELi1EEEENSB_IJLi1ELi0ELi2EEEESD_Li2ELi2ELi2ELb0ELi0ESC_SD_SD_Li2ELi2ELi2ELb0ELi0ELi1ELi2ENSB_IJLi1ELi32ELi1ELi4EEEELi2ELNS_26BlockGemmPipelineSchedulerE0ELNS_24BlockGemmPipelineVersionE2EffLb0ELb0ELb0ELi0ELb0EEELb1ELNS_25InMemoryDataOperationEnumE1ELi2ELNS_10TailNumberE10EEEvNT_8ArgumentE, .Lfunc_end1-_ZN2ck27kernel_gemm_xdl_cshuffle_v3INS_28GridwiseGemm_xdl_cshuffle_v3INS_13tensor_layout4gemm8RowMajorENS3_11ColumnMajorES4_fffffNS_16tensor_operation12element_wise11PassThroughES8_S8_LNS6_6device18GemmSpecializationE0ELi128ELi64ELi64ELi64ELi4ELi4ELi16ELi16ELi2ELi4ENS_8SequenceIJLi4ELi32ELi1EEEENSB_IJLi1ELi0ELi2EEEESD_Li2ELi2ELi2ELb0ELi0ESC_SD_SD_Li2ELi2ELi2ELb0ELi0ELi1ELi2ENSB_IJLi1ELi32ELi1ELi4EEEELi2ELNS_26BlockGemmPipelineSchedulerE0ELNS_24BlockGemmPipelineVersionE2EffLb0ELb0ELb0ELi0ELb0EEELb1ELNS_25InMemoryDataOperationEnumE1ELi2ELNS_10TailNumberE10EEEvNT_8ArgumentE
                                        ; -- End function
	.section	.AMDGPU.csdata,"",@progbits
; Kernel info:
; codeLenInByte = 7200
; NumSgprs: 32
; NumVgprs: 254
; NumAgprs: 0
; TotalNumVgprs: 254
; ScratchSize: 0
; MemoryBound: 0
; FloatMode: 240
; IeeeMode: 1
; LDSByteSize: 32768 bytes/workgroup (compile time only)
; SGPRBlocks: 3
; VGPRBlocks: 31
; NumSGPRsForWavesPerEU: 32
; NumVGPRsForWavesPerEU: 254
; AccumOffset: 256
; Occupancy: 1
; WaveLimiterHint : 0
; COMPUTE_PGM_RSRC2:SCRATCH_EN: 0
; COMPUTE_PGM_RSRC2:USER_SGPR: 6
; COMPUTE_PGM_RSRC2:TRAP_HANDLER: 0
; COMPUTE_PGM_RSRC2:TGID_X_EN: 1
; COMPUTE_PGM_RSRC2:TGID_Y_EN: 0
; COMPUTE_PGM_RSRC2:TGID_Z_EN: 1
; COMPUTE_PGM_RSRC2:TIDIG_COMP_CNT: 0
; COMPUTE_PGM_RSRC3_GFX90A:ACCUM_OFFSET: 63
; COMPUTE_PGM_RSRC3_GFX90A:TG_SPLIT: 0
	.section	.text._ZN2ck27kernel_gemm_xdl_cshuffle_v3INS_28GridwiseGemm_xdl_cshuffle_v3INS_13tensor_layout4gemm8RowMajorENS3_11ColumnMajorES4_fffffNS_16tensor_operation12element_wise11PassThroughES8_S8_LNS6_6device18GemmSpecializationE0ELi128ELi64ELi64ELi64ELi4ELi4ELi16ELi16ELi2ELi4ENS_8SequenceIJLi4ELi32ELi1EEEENSB_IJLi1ELi0ELi2EEEESD_Li2ELi2ELi2ELb0ELi0ESC_SD_SD_Li2ELi2ELi2ELb0ELi0ELi1ELi2ENSB_IJLi1ELi32ELi1ELi4EEEELi2ELNS_26BlockGemmPipelineSchedulerE0ELNS_24BlockGemmPipelineVersionE2EffLb0ELb0ELb0ELi0ELb0EEELb1ELNS_25InMemoryDataOperationEnumE0ELi2ELNS_10TailNumberE10EEEvNT_8ArgumentE,"axG",@progbits,_ZN2ck27kernel_gemm_xdl_cshuffle_v3INS_28GridwiseGemm_xdl_cshuffle_v3INS_13tensor_layout4gemm8RowMajorENS3_11ColumnMajorES4_fffffNS_16tensor_operation12element_wise11PassThroughES8_S8_LNS6_6device18GemmSpecializationE0ELi128ELi64ELi64ELi64ELi4ELi4ELi16ELi16ELi2ELi4ENS_8SequenceIJLi4ELi32ELi1EEEENSB_IJLi1ELi0ELi2EEEESD_Li2ELi2ELi2ELb0ELi0ESC_SD_SD_Li2ELi2ELi2ELb0ELi0ELi1ELi2ENSB_IJLi1ELi32ELi1ELi4EEEELi2ELNS_26BlockGemmPipelineSchedulerE0ELNS_24BlockGemmPipelineVersionE2EffLb0ELb0ELb0ELi0ELb0EEELb1ELNS_25InMemoryDataOperationEnumE0ELi2ELNS_10TailNumberE10EEEvNT_8ArgumentE,comdat
	.protected	_ZN2ck27kernel_gemm_xdl_cshuffle_v3INS_28GridwiseGemm_xdl_cshuffle_v3INS_13tensor_layout4gemm8RowMajorENS3_11ColumnMajorES4_fffffNS_16tensor_operation12element_wise11PassThroughES8_S8_LNS6_6device18GemmSpecializationE0ELi128ELi64ELi64ELi64ELi4ELi4ELi16ELi16ELi2ELi4ENS_8SequenceIJLi4ELi32ELi1EEEENSB_IJLi1ELi0ELi2EEEESD_Li2ELi2ELi2ELb0ELi0ESC_SD_SD_Li2ELi2ELi2ELb0ELi0ELi1ELi2ENSB_IJLi1ELi32ELi1ELi4EEEELi2ELNS_26BlockGemmPipelineSchedulerE0ELNS_24BlockGemmPipelineVersionE2EffLb0ELb0ELb0ELi0ELb0EEELb1ELNS_25InMemoryDataOperationEnumE0ELi2ELNS_10TailNumberE10EEEvNT_8ArgumentE ; -- Begin function _ZN2ck27kernel_gemm_xdl_cshuffle_v3INS_28GridwiseGemm_xdl_cshuffle_v3INS_13tensor_layout4gemm8RowMajorENS3_11ColumnMajorES4_fffffNS_16tensor_operation12element_wise11PassThroughES8_S8_LNS6_6device18GemmSpecializationE0ELi128ELi64ELi64ELi64ELi4ELi4ELi16ELi16ELi2ELi4ENS_8SequenceIJLi4ELi32ELi1EEEENSB_IJLi1ELi0ELi2EEEESD_Li2ELi2ELi2ELb0ELi0ESC_SD_SD_Li2ELi2ELi2ELb0ELi0ELi1ELi2ENSB_IJLi1ELi32ELi1ELi4EEEELi2ELNS_26BlockGemmPipelineSchedulerE0ELNS_24BlockGemmPipelineVersionE2EffLb0ELb0ELb0ELi0ELb0EEELb1ELNS_25InMemoryDataOperationEnumE0ELi2ELNS_10TailNumberE10EEEvNT_8ArgumentE
	.globl	_ZN2ck27kernel_gemm_xdl_cshuffle_v3INS_28GridwiseGemm_xdl_cshuffle_v3INS_13tensor_layout4gemm8RowMajorENS3_11ColumnMajorES4_fffffNS_16tensor_operation12element_wise11PassThroughES8_S8_LNS6_6device18GemmSpecializationE0ELi128ELi64ELi64ELi64ELi4ELi4ELi16ELi16ELi2ELi4ENS_8SequenceIJLi4ELi32ELi1EEEENSB_IJLi1ELi0ELi2EEEESD_Li2ELi2ELi2ELb0ELi0ESC_SD_SD_Li2ELi2ELi2ELb0ELi0ELi1ELi2ENSB_IJLi1ELi32ELi1ELi4EEEELi2ELNS_26BlockGemmPipelineSchedulerE0ELNS_24BlockGemmPipelineVersionE2EffLb0ELb0ELb0ELi0ELb0EEELb1ELNS_25InMemoryDataOperationEnumE0ELi2ELNS_10TailNumberE10EEEvNT_8ArgumentE
	.p2align	8
	.type	_ZN2ck27kernel_gemm_xdl_cshuffle_v3INS_28GridwiseGemm_xdl_cshuffle_v3INS_13tensor_layout4gemm8RowMajorENS3_11ColumnMajorES4_fffffNS_16tensor_operation12element_wise11PassThroughES8_S8_LNS6_6device18GemmSpecializationE0ELi128ELi64ELi64ELi64ELi4ELi4ELi16ELi16ELi2ELi4ENS_8SequenceIJLi4ELi32ELi1EEEENSB_IJLi1ELi0ELi2EEEESD_Li2ELi2ELi2ELb0ELi0ESC_SD_SD_Li2ELi2ELi2ELb0ELi0ELi1ELi2ENSB_IJLi1ELi32ELi1ELi4EEEELi2ELNS_26BlockGemmPipelineSchedulerE0ELNS_24BlockGemmPipelineVersionE2EffLb0ELb0ELb0ELi0ELb0EEELb1ELNS_25InMemoryDataOperationEnumE0ELi2ELNS_10TailNumberE10EEEvNT_8ArgumentE,@function
_ZN2ck27kernel_gemm_xdl_cshuffle_v3INS_28GridwiseGemm_xdl_cshuffle_v3INS_13tensor_layout4gemm8RowMajorENS3_11ColumnMajorES4_fffffNS_16tensor_operation12element_wise11PassThroughES8_S8_LNS6_6device18GemmSpecializationE0ELi128ELi64ELi64ELi64ELi4ELi4ELi16ELi16ELi2ELi4ENS_8SequenceIJLi4ELi32ELi1EEEENSB_IJLi1ELi0ELi2EEEESD_Li2ELi2ELi2ELb0ELi0ESC_SD_SD_Li2ELi2ELi2ELb0ELi0ELi1ELi2ENSB_IJLi1ELi32ELi1ELi4EEEELi2ELNS_26BlockGemmPipelineSchedulerE0ELNS_24BlockGemmPipelineVersionE2EffLb0ELb0ELb0ELi0ELb0EEELb1ELNS_25InMemoryDataOperationEnumE0ELi2ELNS_10TailNumberE10EEEvNT_8ArgumentE: ; @_ZN2ck27kernel_gemm_xdl_cshuffle_v3INS_28GridwiseGemm_xdl_cshuffle_v3INS_13tensor_layout4gemm8RowMajorENS3_11ColumnMajorES4_fffffNS_16tensor_operation12element_wise11PassThroughES8_S8_LNS6_6device18GemmSpecializationE0ELi128ELi64ELi64ELi64ELi4ELi4ELi16ELi16ELi2ELi4ENS_8SequenceIJLi4ELi32ELi1EEEENSB_IJLi1ELi0ELi2EEEESD_Li2ELi2ELi2ELb0ELi0ESC_SD_SD_Li2ELi2ELi2ELb0ELi0ELi1ELi2ENSB_IJLi1ELi32ELi1ELi4EEEELi2ELNS_26BlockGemmPipelineSchedulerE0ELNS_24BlockGemmPipelineVersionE2EffLb0ELb0ELb0ELi0ELb0EEELb1ELNS_25InMemoryDataOperationEnumE0ELi2ELNS_10TailNumberE10EEEvNT_8ArgumentE
; %bb.0:
	s_load_dwordx8 s[16:23], s[4:5], 0x10
	s_load_dword s12, s[4:5], 0x68
	s_load_dwordx2 s[8:9], s[4:5], 0x60
	s_load_dwordx4 s[0:3], s[4:5], 0x50
	s_waitcnt lgkmcnt(0)
	s_cmp_gt_i32 s22, 1
	s_cselect_b64 s[10:11], -1, 0
	s_bitcmp1_b32 s12, 0
	s_cselect_b64 s[12:13], -1, 0
	s_and_b64 s[10:11], s[10:11], s[12:13]
	s_andn2_b64 vcc, exec, s[10:11]
	s_mov_b64 s[10:11], 0
	s_cbranch_vccnz .LBB2_2
; %bb.1:
	s_mul_i32 s10, s16, s7
	s_mul_i32 s10, s10, s17
	s_ashr_i32 s11, s10, 31
.LBB2_2:
	s_load_dword s13, s[4:5], 0x34
	s_load_dword s23, s[4:5], 0x3c
	s_add_i32 s4, s16, -1
	s_cmp_lt_u32 s4, 64
	s_mov_b32 s12, 0
	s_cbranch_scc1 .LBB2_10
; %bb.3:
	s_add_i32 s4, s17, -1
	s_cmp_lt_u32 s4, 64
	s_mov_b32 s4, 0
	s_cbranch_scc1 .LBB2_9
; %bb.4:
	s_add_i32 s4, s16, 63
	s_ashr_i32 s5, s4, 31
	s_lshr_b32 s5, s5, 26
	s_add_i32 s4, s4, s5
	s_ashr_i32 s14, s4, 6
	s_add_i32 s4, s17, 63
	s_ashr_i32 s5, s4, 31
	s_lshr_b32 s5, s5, 26
	s_add_i32 s4, s4, s5
	s_ashr_i32 s12, s4, 6
	s_mul_i32 s4, s12, s14
	s_add_i32 s5, s4, 7
	s_ashr_i32 s15, s5, 31
	s_lshr_b32 s15, s15, 29
	s_add_i32 s5, s5, s15
	s_ashr_i32 s15, s5, 3
	s_and_b32 s5, s5, -8
	s_sub_i32 s24, s4, s5
	s_ashr_i32 s4, s6, 31
	s_lshr_b32 s4, s4, 29
	s_add_i32 s26, s6, s4
	s_and_b32 s4, s26, -8
	s_add_i32 s24, s24, 8
	s_sub_i32 s25, s6, s4
	s_cmp_gt_i32 s25, s24
	s_cbranch_scc1 .LBB2_6
; %bb.5:
	s_mul_i32 s6, s15, s25
	s_ashr_i32 s4, s26, 3
	s_cbranch_execz .LBB2_7
	s_branch .LBB2_8
.LBB2_6:
                                        ; implicit-def: $sgpr6
	s_ashr_i32 s4, s26, 3
.LBB2_7:
	s_add_i32 s5, s15, -1
	s_mul_i32 s5, s5, s25
	s_add_i32 s6, s24, s5
.LBB2_8:
	s_abs_i32 s5, s12
	v_cvt_f32_u32_e32 v1, s5
	s_sub_i32 s24, 0, s5
	s_add_i32 s4, s6, s4
	s_abs_i32 s15, s4
	v_rcp_iflag_f32_e32 v1, v1
	s_xor_b32 s6, s4, s12
	s_ashr_i32 s6, s6, 31
	v_mul_f32_e32 v1, 0x4f7ffffe, v1
	v_cvt_u32_f32_e32 v1, v1
	v_readfirstlane_b32 s25, v1
	s_mul_i32 s24, s24, s25
	s_mul_hi_u32 s24, s25, s24
	s_add_i32 s25, s25, s24
	s_mul_hi_u32 s24, s15, s25
	s_mul_i32 s25, s24, s5
	s_sub_i32 s15, s15, s25
	s_add_i32 s26, s24, 1
	s_sub_i32 s25, s15, s5
	s_cmp_ge_u32 s15, s5
	s_cselect_b32 s24, s26, s24
	s_cselect_b32 s15, s25, s15
	s_add_i32 s25, s24, 1
	s_cmp_ge_u32 s15, s5
	s_cselect_b32 s5, s25, s24
	s_xor_b32 s5, s5, s6
	s_lshr_b32 s15, s14, 30
	s_sub_i32 s5, s5, s6
	s_add_i32 s15, s14, s15
	s_mul_i32 s6, s5, s12
	s_sub_i32 s4, s4, s6
	s_and_b32 s6, s15, -4
	s_sub_i32 s14, s14, s6
	s_cmp_ge_i32 s5, s6
	s_cselect_b32 s6, s14, 4
	s_abs_i32 s15, s6
	v_cvt_f32_u32_e32 v1, s15
	s_ashr_i32 s14, s5, 31
	s_lshr_b32 s14, s14, 30
	s_add_i32 s14, s5, s14
	v_rcp_iflag_f32_e32 v1, v1
	s_and_b32 s14, s14, -4
	s_sub_i32 s14, s5, s14
	s_sub_i32 s25, 0, s15
	v_mul_f32_e32 v1, 0x4f7ffffe, v1
	v_cvt_u32_f32_e32 v1, v1
	s_mul_i32 s12, s14, s12
	s_add_i32 s12, s12, s4
	s_abs_i32 s24, s12
	v_readfirstlane_b32 s26, v1
	s_mul_i32 s25, s25, s26
	s_mul_hi_u32 s25, s26, s25
	s_add_i32 s26, s26, s25
	s_mul_hi_u32 s25, s24, s26
	s_mul_i32 s26, s25, s15
	s_xor_b32 s4, s12, s6
	s_sub_i32 s24, s24, s26
	s_ashr_i32 s4, s4, 31
	s_add_i32 s26, s25, 1
	s_sub_i32 s27, s24, s15
	s_cmp_ge_u32 s24, s15
	s_cselect_b32 s25, s26, s25
	s_cselect_b32 s24, s27, s24
	s_add_i32 s26, s25, 1
	s_cmp_ge_u32 s24, s15
	s_cselect_b32 s15, s26, s25
	s_xor_b32 s15, s15, s4
	s_sub_i32 s4, s15, s4
	s_mul_i32 s6, s4, s6
	s_sub_i32 s6, s12, s6
	s_add_i32 s6, s6, s5
	s_sub_i32 s6, s6, s14
.LBB2_9:
	s_mov_b32 s12, s6
	s_mov_b32 s6, s4
.LBB2_10:
	s_waitcnt lgkmcnt(0)
	s_mul_i32 s4, s13, s7
	s_ashr_i32 s5, s4, 31
	s_lshl_b64 s[4:5], s[4:5], 2
	s_add_u32 s0, s0, s4
	s_addc_u32 s1, s1, s5
	s_add_u32 s4, s2, s4
	s_addc_u32 s5, s3, s5
	s_add_u32 s14, 0, 0
	s_addc_u32 s15, s16, -1
	s_add_u32 s3, 0, 0
	s_addc_u32 s3, s17, 0x3fffffff
	s_mul_i32 s24, s3, s20
	s_add_i32 s3, s22, -1
	s_mul_i32 s22, s3, s13
	s_sub_i32 s18, s18, s22
	s_cmp_lt_u32 s7, s3
	v_lshrrev_b32_e32 v163, 1, v0
	s_cselect_b32 s7, s13, s18
	s_lshl_b32 s3, s12, 6
	v_lshlrev_b32_e32 v1, 2, v0
	v_and_b32_e32 v164, 62, v163
	v_and_b32_e32 v194, 12, v1
	v_add_u32_e32 v1, s3, v164
	v_and_b32_e32 v72, 14, v163
	s_lshl_b32 s13, s6, 6
	v_mul_lo_u32 v162, v1, s19
	v_xor_b32_e32 v199, v72, v194
	v_lshlrev_b32_e32 v1, 6, v164
	v_lshl_or_b32 v73, v199, 2, v1
	v_add_u32_e32 v1, s13, v164
	v_lshlrev_b32_e32 v2, 2, v194
	v_mul_lo_u32 v165, v1, s20
	v_add_u32_e32 v3, v162, v2
	v_add_u32_e32 v74, v165, v2
	v_and_b32_e32 v1, 63, v0
	v_and_b32_e32 v2, 48, v0
	v_sub_u32_e32 v79, v1, v2
	v_lshrrev_b32_e32 v1, 2, v0
	v_and_b32_e32 v4, 16, v1
	v_add_u32_e32 v80, v79, v4
	v_lshrrev_b32_e32 v8, 2, v2
	v_lshrrev_b16_e32 v2, 12, v80
	v_add_u16_e32 v2, v80, v2
	v_and_b32_e32 v2, -16, v2
	v_sub_u16_e32 v9, v80, v2
	v_lshrrev_b16_e32 v2, 11, v79
	v_and_b32_e32 v2, 15, v2
	v_add_u16_e32 v2, v79, v2
	s_ashr_i32 s3, s23, 31
	v_and_b32_e32 v2, 0xf0, v2
	s_lshr_b32 s3, s3, 28
	v_sub_u16_e32 v6, v79, v2
	s_add_i32 s23, s23, s3
	s_mul_i32 s2, s15, s19
	v_xor_b32_sdwa v7, v8, sext(v9) dst_sel:DWORD dst_unused:UNUSED_PAD src0_sel:DWORD src1_sel:WORD_0
	v_xor_b32_sdwa v78, v8, sext(v6) dst_sel:DWORD dst_unused:UNUSED_PAD src0_sel:DWORD src1_sel:BYTE_0
	s_ashr_i32 s18, s23, 4
	; sched_barrier mask(0x00000000)
	v_add_u32_e32 v2, 12, v3
	s_add_i32 s2, s7, s2
	v_add_lshl_u32 v30, v2, s19, 2
	s_lshl_b32 s2, s2, 2
	s_mov_b32 s3, 0x20000
	v_lshlrev_b32_e32 v75, 2, v3
	v_subrev_u32_e32 v28, 40, v30
	buffer_load_dwordx4 v[10:13], v75, s[0:3], 0 offen
	v_subrev_u32_e32 v26, 32, v30
	v_subrev_u32_e32 v27, 24, v30
	v_add_lshl_u32 v29, v3, s19, 2
	buffer_load_dwordx2 v[16:17], v28, s[0:3], 0 offen
	buffer_load_dwordx2 v[14:15], v29, s[0:3], 0 offen
	;; [unrolled: 1-line block ×4, first 2 shown]
	buffer_load_dwordx4 v[18:21], v75, s[0:3], 0 offen offset:16
	buffer_load_dwordx4 v[22:25], v75, s[0:3], 0 offen offset:32
	v_add_u32_e32 v26, -8, v30
	v_add_u32_e32 v27, -16, v30
	buffer_load_dwordx2 v[52:53], v26, s[0:3], 0 offen
	buffer_load_dwordx2 v[54:55], v27, s[0:3], 0 offen
	v_lshlrev_b32_e32 v2, 2, v2
	buffer_load_dwordx4 v[26:29], v30, s[0:3], 0 offen
	buffer_load_dwordx2 v[56:57], v2, s[0:3], 0 offen
	buffer_load_dwordx2 v[58:59], v75, s[0:3], 0 offen offset:56
	v_add_u32_e32 v2, 12, v74
	s_add_i32 s7, s7, s24
	v_add_lshl_u32 v70, v2, s20, 2
	s_lshl_b32 s6, s7, 2
	s_mov_b32 s7, s3
	v_lshlrev_b32_e32 v76, 2, v74
	v_subrev_u32_e32 v38, 40, v70
	buffer_load_dwordx4 v[30:33], v76, s[4:7], 0 offen
	v_add_lshl_u32 v39, v74, s20, 2
	buffer_load_dwordx2 v[36:37], v38, s[4:7], 0 offen
	buffer_load_dwordx2 v[34:35], v39, s[4:7], 0 offen
	v_subrev_u32_e32 v46, 32, v70
	v_subrev_u32_e32 v47, 24, v70
	buffer_load_dwordx2 v[60:61], v46, s[4:7], 0 offen
	buffer_load_dwordx2 v[62:63], v47, s[4:7], 0 offen
	buffer_load_dwordx4 v[38:41], v76, s[4:7], 0 offen offset:16
	buffer_load_dwordx4 v[42:45], v76, s[4:7], 0 offen offset:32
	v_add_u32_e32 v71, -8, v70
	v_add_u32_e32 v77, -16, v70
	buffer_load_dwordx2 v[64:65], v71, s[4:7], 0 offen
	buffer_load_dwordx2 v[66:67], v77, s[4:7], 0 offen
	buffer_load_dwordx4 v[46:49], v70, s[4:7], 0 offen
	buffer_load_dwordx2 v[68:69], v76, s[4:7], 0 offen offset:56
	v_lshlrev_b32_e32 v2, 2, v2
	buffer_load_dwordx2 v[70:71], v2, s[4:7], 0 offen
	v_or_b32_e32 v81, 1, v72
	v_or_b32_e32 v195, 1, v194
	v_xor_b32_e32 v2, v81, v194
	v_add_u32_e32 v82, 0x4c, v3
	v_xor_b32_e32 v3, v81, v195
	v_sub_u32_e32 v87, v2, v199
	v_lshlrev_b32_e32 v77, 2, v73
	v_or_b32_e32 v196, 2, v194
	v_xor_b32_e32 v83, v195, v72
	v_lshlrev_b32_e32 v86, 2, v82
	v_sub_u32_e32 v88, v3, v2
	v_lshlrev_b32_e32 v90, 4, v87
	v_xor_b32_e32 v84, v196, v72
	v_sub_u32_e32 v89, v83, v3
	v_lshl_add_u32 v73, v87, 2, v73
	v_lshlrev_b32_e32 v87, 4, v88
	buffer_load_dwordx2 v[2:3], v86, s[0:3], 0 offen
	v_add_u32_e32 v86, v77, v90
	v_sub_u32_e32 v83, v84, v83
	v_lshlrev_b32_e32 v91, 4, v89
	v_lshl_add_u32 v73, v88, 2, v73
	v_add_u32_e32 v88, v86, v87
	v_lshlrev_b32_e32 v92, 4, v83
	v_lshl_add_u32 v73, v89, 2, v73
	v_add_u32_e32 v89, v88, v91
	v_or_b32_e32 v197, 3, v194
	v_xor_b32_e32 v85, v196, v81
	v_lshl_add_u32 v73, v83, 2, v73
	v_add_u32_e32 v83, v89, v92
	v_sub_u32_e32 v84, v85, v84
	v_xor_b32_e32 v167, v197, v72
	v_and_b32_e32 v198, 15, v0
	s_waitcnt vmcnt(24)
	ds_write_b128 v77, v[10:13]
	s_waitcnt vmcnt(22)
	ds_write_b128 v86, v[14:17] offset:256
	s_waitcnt vmcnt(20)
	ds_write2_b64 v88, v[4:5], v[50:51] offset0:32 offset1:33
	s_waitcnt vmcnt(19)
	ds_write2_b64 v89, v[18:19], v[20:21] offset1:1
	s_waitcnt vmcnt(18)
	ds_write2_b64 v83, v[22:23], v[24:25] offset1:1
	v_xor_b32_e32 v5, v81, v197
	v_sub_u32_e32 v10, v5, v85
	v_lshlrev_b32_e32 v4, 2, v84
	v_lshlrev_b32_e32 v11, 2, v10
	v_add3_u32 v166, v4, v73, v11
	v_lshlrev_b32_e32 v4, 4, v84
	v_add3_u32 v11, v83, 8, v4
	v_lshlrev_b32_e32 v10, 4, v10
	v_sub_u32_e32 v168, v167, v5
	s_waitcnt vmcnt(16)
	ds_write2_b64 v11, v[54:55], v[52:53] offset0:31 offset1:32
	v_add_u32_e32 v11, v11, v10
	v_lshlrev_b32_e32 v5, 4, v168
	s_waitcnt vmcnt(15)
	ds_write2_b64 v11, v[26:27], v[28:29] offset0:31 offset1:32
	v_add_u32_e32 v11, v11, v5
	s_waitcnt vmcnt(13)
	ds_write_b64 v11, v[58:59]
	v_add_u32_e32 v11, -8, v11
	ds_write_b64 v11, v[56:57]
	v_or_b32_e32 v11, 0x4000, v77
	v_add_u32_e32 v11, v11, v90
	v_add_u32_e32 v12, 0x4c, v74
	s_waitcnt vmcnt(12)
	ds_write_b128 v77, v[30:33] offset:16384
	v_lshlrev_b32_e32 v13, 2, v12
	s_waitcnt vmcnt(10)
	ds_write_b128 v11, v[34:37] offset:256
	v_add_u32_e32 v11, v11, v87
	buffer_load_dwordx2 v[14:15], v13, s[4:7], 0 offen
	v_add_u32_e32 v13, v11, v91
	s_waitcnt vmcnt(9)
	ds_write2_b64 v11, v[60:61], v[62:63] offset0:32 offset1:33
	s_waitcnt vmcnt(8)
	ds_write2_b64 v13, v[38:39], v[40:41] offset1:1
	v_add_u32_e32 v11, v13, v92
	s_waitcnt vmcnt(7)
	ds_write_b64 v11, v[42:43]
	v_add3_u32 v11, v13, 8, v92
	v_add_u32_e32 v4, v11, v4
	ds_write_b64 v11, v[44:45]
	s_waitcnt vmcnt(5)
	ds_write2_b64 v4, v[66:67], v[64:65] offset0:31 offset1:32
	v_add_u32_e32 v4, v4, v10
	s_waitcnt vmcnt(4)
	ds_write2_b64 v4, v[46:47], v[48:49] offset0:31 offset1:32
	v_add_u32_e32 v4, v4, v5
	s_waitcnt vmcnt(3)
	ds_write_b64 v4, v[68:69]
	v_add_u32_e32 v4, -8, v4
	v_add_lshl_u32 v10, v82, s19, 2
	s_waitcnt vmcnt(2)
	ds_write_b64 v4, v[70:71]
	v_add_u32_e32 v11, -8, v10
	buffer_load_dwordx4 v[30:33], v75, s[0:3], 0 offen offset:256
	buffer_load_dwordx4 v[22:25], v75, s[0:3], 0 offen offset:272
	;; [unrolled: 1-line block ×3, first 2 shown]
	buffer_load_dwordx2 v[4:5], v75, s[0:3], 0 offen offset:312
	buffer_load_dwordx4 v[50:53], v10, s[0:3], 0 offen
	buffer_load_dwordx2 v[48:49], v11, s[0:3], 0 offen
	v_add_u32_e32 v11, -16, v10
	v_subrev_u32_e32 v13, 32, v10
	v_subrev_u32_e32 v16, 24, v10
	;; [unrolled: 1-line block ×4, first 2 shown]
	buffer_load_dwordx2 v[46:47], v11, s[0:3], 0 offen
	buffer_load_dwordx2 v[62:63], v13, s[0:3], 0 offen
	buffer_load_dwordx2 v[64:65], v16, s[0:3], 0 offen
	buffer_load_dwordx2 v[68:69], v17, s[0:3], 0 offen
	buffer_load_dwordx2 v[66:67], v10, s[0:3], 0 offen
	buffer_load_dwordx4 v[34:37], v76, s[4:7], 0 offen offset:256
	buffer_load_dwordx4 v[38:41], v76, s[4:7], 0 offen offset:272
	;; [unrolled: 1-line block ×3, first 2 shown]
	s_nop 0
	buffer_load_dwordx2 v[16:17], v76, s[4:7], 0 offen offset:312
	v_add_lshl_u32 v10, v12, s20, 2
	v_add_u32_e32 v11, -8, v10
	buffer_load_dwordx4 v[58:61], v10, s[4:7], 0 offen
	buffer_load_dwordx2 v[56:57], v11, s[4:7], 0 offen
	v_add_u32_e32 v11, -16, v10
	v_subrev_u32_e32 v12, 32, v10
	v_subrev_u32_e32 v13, 24, v10
	;; [unrolled: 1-line block ×3, first 2 shown]
	buffer_load_dwordx2 v[54:55], v11, s[4:7], 0 offen
	buffer_load_dwordx2 v[74:75], v12, s[4:7], 0 offen
	;; [unrolled: 1-line block ×4, first 2 shown]
	v_subrev_u32_e32 v10, 48, v10
	buffer_load_dwordx2 v[70:71], v10, s[4:7], 0 offen
	v_add_u16_e32 v11, 32, v80
	v_ashrrev_i16_e32 v12, 15, v11
	v_lshrrev_b16_e32 v12, 12, v12
	v_add_u16_e32 v12, v11, v12
	v_add_u16_e32 v13, 16, v79
	v_mov_b32_e32 v18, 11
	v_and_b32_e32 v12, -16, v12
	v_lshrrev_b16_sdwa v19, v18, sext(v13) dst_sel:DWORD dst_unused:UNUSED_PAD src0_sel:DWORD src1_sel:BYTE_0
	v_sub_u16_e32 v11, v11, v12
	v_and_b32_e32 v19, 15, v19
	v_xor_b32_sdwa v12, v8, sext(v11) dst_sel:DWORD dst_unused:UNUSED_PAD src0_sel:DWORD src1_sel:WORD_0
	v_add_u16_e32 v19, v13, v19
	v_lshlrev_b32_e32 v10, 8, v80
	v_sub_u32_e32 v12, v12, v7
	v_and_b32_e32 v19, 0xf0, v19
	v_lshl_add_u32 v200, v7, 4, v10
	v_lshlrev_b32_e32 v12, 4, v12
	v_sub_u16_e32 v13, v13, v19
	v_add_u32_e32 v201, v200, v12
	v_lshlrev_b32_e32 v12, 8, v79
	v_xor_b32_sdwa v19, v8, sext(v13) dst_sel:DWORD dst_unused:UNUSED_PAD src0_sel:DWORD src1_sel:BYTE_0
	v_lshl_add_u32 v202, v78, 4, v12
	v_sub_u32_e32 v19, v19, v78
	v_add_u32_e32 v80, 0x4000, v202
	v_lshlrev_b32_e32 v203, 4, v19
	v_add_u32_e32 v19, v80, v203
	s_waitcnt lgkmcnt(0)
	s_barrier
	ds_read_b128 v[102:105], v200
	ds_read_b128 v[106:109], v202 offset:16384
	ds_read_b128 v[90:93], v201 offset:8192
	;; [unrolled: 1-line block ×3, first 2 shown]
	v_add_u16_e32 v19, 32, v79
	v_lshrrev_b16_sdwa v18, v18, sext(v19) dst_sel:DWORD dst_unused:UNUSED_PAD src0_sel:DWORD src1_sel:BYTE_0
	v_and_b32_e32 v18, 15, v18
	v_add_u16_e32 v18, v19, v18
	v_and_b32_e32 v18, 0xf0, v18
	v_sub_u16_e32 v79, v19, v18
	v_xor_b32_sdwa v18, v8, sext(v79) dst_sel:DWORD dst_unused:UNUSED_PAD src0_sel:DWORD src1_sel:BYTE_0
	v_sub_u32_e32 v18, v18, v78
	v_xor_b32_e32 v19, v8, v198
	v_lshlrev_b32_e32 v204, 4, v18
	v_sub_u32_e32 v19, v19, v78
	v_add_u32_e32 v18, v80, v204
	v_lshlrev_b32_e32 v205, 4, v19
	v_add_u32_e32 v19, v80, v205
	ds_read_b128 v[134:137], v18 offset:8192
	ds_read_b128 v[122:125], v19 offset:12288
	v_or_b32_e32 v18, 1, v8
	v_xor_b32_sdwa v19, v18, sext(v9) dst_sel:DWORD dst_unused:UNUSED_PAD src0_sel:DWORD src1_sel:WORD_0
	v_lshl_add_u32 v206, v19, 4, v10
	v_xor_b32_sdwa v19, v18, sext(v11) dst_sel:DWORD dst_unused:UNUSED_PAD src0_sel:DWORD src1_sel:WORD_0
	v_sub_u32_e32 v19, v19, v7
	v_lshlrev_b32_e32 v19, 4, v19
	v_add_u32_e32 v207, v200, v19
	v_xor_b32_sdwa v19, v18, sext(v6) dst_sel:DWORD dst_unused:UNUSED_PAD src0_sel:DWORD src1_sel:BYTE_0
	v_lshl_add_u32 v208, v19, 4, v12
	v_xor_b32_sdwa v19, v18, sext(v13) dst_sel:DWORD dst_unused:UNUSED_PAD src0_sel:DWORD src1_sel:BYTE_0
	v_sub_u32_e32 v19, v19, v78
	v_lshlrev_b32_e32 v209, 4, v19
	v_add_u32_e32 v19, v80, v209
	ds_read_b128 v[110:113], v206
	ds_read_b128 v[114:117], v208 offset:16384
	ds_read_b128 v[98:101], v207 offset:8192
	;; [unrolled: 1-line block ×3, first 2 shown]
	v_xor_b32_sdwa v19, v18, sext(v79) dst_sel:DWORD dst_unused:UNUSED_PAD src0_sel:DWORD src1_sel:BYTE_0
	v_xor_b32_e32 v18, v18, v198
	v_sub_u32_e32 v19, v19, v78
	v_sub_u32_e32 v18, v18, v78
	v_lshlrev_b32_e32 v210, 4, v19
	v_lshlrev_b32_e32 v211, 4, v18
	v_add_u32_e32 v19, v80, v210
	v_add_u32_e32 v18, v80, v211
	ds_read_b128 v[150:153], v19 offset:8192
	ds_read_b128 v[146:149], v18 offset:12288
	v_or_b32_e32 v18, 2, v8
	v_xor_b32_sdwa v19, v18, sext(v9) dst_sel:DWORD dst_unused:UNUSED_PAD src0_sel:DWORD src1_sel:WORD_0
	v_lshl_add_u32 v212, v19, 4, v10
	v_xor_b32_sdwa v19, v18, sext(v11) dst_sel:DWORD dst_unused:UNUSED_PAD src0_sel:DWORD src1_sel:WORD_0
	v_sub_u32_e32 v19, v19, v7
	v_lshlrev_b32_e32 v19, 4, v19
	v_add_u32_e32 v213, v200, v19
	v_xor_b32_sdwa v19, v18, sext(v6) dst_sel:DWORD dst_unused:UNUSED_PAD src0_sel:DWORD src1_sel:BYTE_0
	v_lshl_add_u32 v214, v19, 4, v12
	v_xor_b32_sdwa v19, v18, sext(v13) dst_sel:DWORD dst_unused:UNUSED_PAD src0_sel:DWORD src1_sel:BYTE_0
	v_sub_u32_e32 v19, v19, v78
	v_lshlrev_b32_e32 v215, 4, v19
	v_or_b32_e32 v81, 3, v8
	v_add_u32_e32 v19, v80, v215
	v_xor_b32_sdwa v8, v81, sext(v9) dst_sel:DWORD dst_unused:UNUSED_PAD src0_sel:DWORD src1_sel:WORD_0
	v_xor_b32_sdwa v6, v81, sext(v6) dst_sel:DWORD dst_unused:UNUSED_PAD src0_sel:DWORD src1_sel:BYTE_0
	ds_read_b128 v[130:133], v212
	ds_read_b128 v[142:145], v214 offset:16384
	ds_read_b128 v[94:97], v213 offset:8192
	;; [unrolled: 1-line block ×3, first 2 shown]
	v_xor_b32_sdwa v19, v18, sext(v79) dst_sel:DWORD dst_unused:UNUSED_PAD src0_sel:DWORD src1_sel:BYTE_0
	v_xor_b32_e32 v18, v18, v198
	v_lshl_add_u32 v218, v8, 4, v10
	v_xor_b32_sdwa v8, v81, sext(v11) dst_sel:DWORD dst_unused:UNUSED_PAD src0_sel:DWORD src1_sel:WORD_0
	v_lshl_add_u32 v220, v6, 4, v12
	v_xor_b32_sdwa v6, v81, sext(v13) dst_sel:DWORD dst_unused:UNUSED_PAD src0_sel:DWORD src1_sel:BYTE_0
	v_xor_b32_sdwa v79, v81, sext(v79) dst_sel:DWORD dst_unused:UNUSED_PAD src0_sel:DWORD src1_sel:BYTE_0
	v_xor_b32_e32 v81, v81, v198
	v_sub_u32_e32 v19, v19, v78
	v_sub_u32_e32 v18, v18, v78
	;; [unrolled: 1-line block ×6, first 2 shown]
	v_lshlrev_b32_e32 v216, 4, v19
	v_lshlrev_b32_e32 v217, 4, v18
	;; [unrolled: 1-line block ×6, first 2 shown]
	v_add_u32_e32 v19, v80, v216
	v_add_u32_e32 v18, v80, v217
	;; [unrolled: 1-line block ×6, first 2 shown]
	ds_read_b128 v[158:161], v19 offset:8192
	ds_read_b128 v[138:141], v18 offset:12288
	ds_read_b128 v[82:85], v218
	ds_read_b128 v[18:21], v220 offset:16384
	ds_read_b128 v[6:9], v219 offset:8192
	;; [unrolled: 1-line block ×5, first 2 shown]
	v_sub_u32_e32 v167, v199, v167
	v_lshlrev_b32_e32 v168, 2, v168
	v_lshlrev_b32_e32 v167, 2, v167
	v_add3_u32 v234, v166, v168, v167
	; sched_barrier mask(0x00000000)
	v_or_b32_e32 v224, 1, v163
	s_add_i32 s18, s18, -1
	v_sub_u32_e32 v163, v224, v164
	v_and_b32_e32 v164, 3, v0
	v_add_lshl_u32 v230, v162, s19, 2
	v_lshlrev_b32_e32 v231, 2, v162
	v_mov_b32_e32 v162, 0
	s_max_i32 s18, s18, 1
	v_lshlrev_b32_e32 v225, 6, v163
	v_lshlrev_b32_e32 v226, 6, v164
	v_add_lshl_u32 v227, v165, s20, 2
	v_lshlrev_b32_e32 v228, 2, v165
	v_add_u32_e32 v229, -1, v163
	v_not_b32_e32 v232, 63
	v_mov_b32_e32 v233, 0x4000
	v_mov_b32_e32 v235, v234
	;; [unrolled: 1-line block ×33, first 2 shown]
.LBB2_11:                               ; =>This Inner Loop Header: Depth=1
	v_lshlrev_b32_e32 v236, 2, v235
	v_add_u32_e32 v239, v226, v231
	s_waitcnt lgkmcnt(0)
	s_barrier
	s_waitcnt vmcnt(15)
	ds_write2_b64 v236, v[30:31], v[32:33] offset1:1
	buffer_load_dwordx4 v[30:33], v239, s[0:3], 0 offen offset:512
	v_mfma_f32_16x16x4f32 v[182:185], v102, v106, v[182:185]
	v_ashrrev_i32_e32 v237, 31, v224
	v_add_u32_e32 v238, -1, v224
	v_lshrrev_b32_e32 v237, 28, v237
	v_ashrrev_i32_e32 v240, 31, v238
	v_add_u32_e32 v237, v224, v237
	v_lshrrev_b32_e32 v240, 28, v240
	v_and_b32_e32 v237, -16, v237
	v_add_u32_e32 v240, v238, v240
	v_sub_u32_e32 v237, v224, v237
	v_mfma_f32_16x16x4f32 v[182:185], v103, v107, v[182:185]
	v_and_b32_e32 v240, -16, v240
	v_xor_b32_e32 v241, v237, v194
	v_xor_b32_e32 v242, v237, v195
	v_sub_u32_e32 v238, v238, v240
	v_sub_u32_e32 v199, v241, v199
	;; [unrolled: 1-line block ×3, first 2 shown]
	v_xor_b32_e32 v241, v238, v195
	v_lshl_add_u32 v199, v199, 2, v225
	v_sub_u32_e32 v242, v241, v242
	v_lshlrev_b32_e32 v244, 2, v199
	v_lshlrev_b32_e32 v243, 4, v240
	v_lshl_add_u32 v242, v242, 2, v232
	v_add_u32_e32 v236, v236, v244
	v_lshlrev_b32_e32 v245, 2, v242
	s_waitcnt vmcnt(12)
	ds_write2_b64 v236, v[66:67], v[68:69] offset1:1
	v_add_u32_e32 v66, v236, v243
	s_waitcnt vmcnt(11)
	ds_write2_b64 v66, v[62:63], v[64:65] offset1:1
	v_add_u32_e32 v66, v66, v245
	v_mfma_f32_16x16x4f32 v[182:185], v104, v108, v[182:185]
	ds_write2_b64 v66, v[22:23], v[24:25] offset1:1
	buffer_load_dwordx4 v[22:25], v239, s[0:3], 0 offen offset:528
	v_xor_b32_e32 v69, v238, v196
	v_xor_b32_e32 v67, v237, v196
	;; [unrolled: 1-line block ×3, first 2 shown]
	v_lshlrev_b32_e32 v237, 2, v240
	v_xor_b32_e32 v236, v238, v197
	v_mfma_f32_16x16x4f32 v[62:65], v102, v126, v[178:181]
	; sched_group_barrier mask(0x00000020) size(1) SyncID(0)
	; sched_group_barrier mask(0x00000008) size(3) SyncID(0)
	;; [unrolled: 1-line block ×3, first 2 shown]
	v_mfma_f32_16x16x4f32 v[62:65], v103, v127, v[62:65]
	v_mfma_f32_16x16x4f32 v[178:181], v105, v109, v[182:185]
	; sched_group_barrier mask(0x00000008) size(3) SyncID(0)
	s_nop 6
	v_sub_u32_e32 v183, v69, v241
	v_add3_u32 v185, v235, v199, v237
	v_lshlrev_b32_e32 v235, 4, v183
	v_sub_u32_e32 v182, v68, v67
	v_add_u32_e32 v246, v66, v235
	v_sub_u32_e32 v184, v67, v69
	v_lshlrev_b32_e32 v240, 2, v182
	v_lshlrev_b32_e32 v241, 4, v182
	v_sub_u32_e32 v182, v236, v68
	ds_write2_b64 v246, v[26:27], v[28:29] offset1:1
	buffer_load_dwordx4 v[26:29], v239, s[0:3], 0 offen offset:544
	v_mfma_f32_16x16x4f32 v[66:69], v102, v134, v[174:177]
	v_lshlrev_b32_e32 v247, 2, v183
	v_lshl_add_u32 v249, v184, 2, 64
	v_lshlrev_b32_e32 v248, 4, v184
	v_lshl_add_u32 v250, v182, 2, v232
	v_lshlrev_b32_e32 v251, 2, v249
	s_nop 1
	v_add3_u32 v174, v185, v242, v247
	v_add3_u32 v253, v174, v249, v240
	v_mfma_f32_16x16x4f32 v[62:65], v104, v128, v[62:65]
	v_lshlrev_b32_e32 v252, 2, v250
	v_lshlrev_b32_e32 v182, 2, v253
	v_add_u32_e32 v174, v246, v248
	v_add_u32_e32 v184, v246, v251
	v_add3_u32 v183, v182, 8, v252
	s_waitcnt vmcnt(12)
	ds_write_b64 v174, v[48:49] offset:264
	ds_write_b64 v184, v[46:47]
	v_add_u32_e32 v46, v184, v241
	s_waitcnt vmcnt(11)
	ds_write_b64 v46, v[50:51]
	ds_write_b64 v182, v[52:53] offset:8
	ds_write_b64 v183, v[4:5]
	v_add_u32_e32 v4, v46, v252
	v_mfma_f32_16x16x4f32 v[174:177], v105, v129, v[62:65]
	ds_write_b64 v4, v[2:3]
	buffer_load_dwordx4 v[2:5], v239, s[0:3], 0 offen offset:560
	v_add_u32_e32 v239, v226, v230
	; sched_group_barrier mask(0x00000020) size(1) SyncID(0)
	; sched_group_barrier mask(0x00000008) size(3) SyncID(0)
	;; [unrolled: 1-line block ×3, first 2 shown]
	v_mfma_f32_16x16x4f32 v[46:49], v103, v135, v[66:69]
	v_mfma_f32_16x16x4f32 v[46:49], v104, v136, v[46:49]
	;; [unrolled: 1-line block ×3, first 2 shown]
	s_nop 4
	buffer_load_dwordx4 v[66:69], v239, s[0:3], 0 offen offset:512
	; sched_group_barrier mask(0x00000008) size(3) SyncID(0)
	; sched_group_barrier mask(0x00000020) size(1) SyncID(0)
	v_mfma_f32_16x16x4f32 v[46:49], v102, v122, v[170:173]
	v_mfma_f32_16x16x4f32 v[46:49], v103, v123, v[46:49]
	;; [unrolled: 1-line block ×3, first 2 shown]
	buffer_load_dwordx4 v[62:65], v239, s[0:3], 0 offen offset:528
	; sched_group_barrier mask(0x00000008) size(3) SyncID(0)
	; sched_group_barrier mask(0x00000020) size(1) SyncID(0)
	v_mfma_f32_16x16x4f32 v[50:53], v90, v106, v[186:189]
	v_mfma_f32_16x16x4f32 v[50:53], v91, v107, v[50:53]
	;; [unrolled: 1-line block ×3, first 2 shown]
	; sched_group_barrier mask(0x00000008) size(3) SyncID(0)
	s_nop 6
	buffer_load_dwordx4 v[46:49], v239, s[0:3], 0 offen offset:544
	v_mfma_f32_16x16x4f32 v[170:173], v90, v126, v[190:193]
	; sched_group_barrier mask(0x00000020) size(1) SyncID(0)
	v_mfma_f32_16x16x4f32 v[50:53], v92, v108, v[50:53]
	v_mfma_f32_16x16x4f32 v[106:109], v93, v109, v[50:53]
	; sched_group_barrier mask(0x00000008) size(3) SyncID(0)
	s_nop 7
	s_nop 1
	buffer_load_dwordx4 v[50:53], v239, s[0:3], 0 offen offset:560
	v_mfma_f32_16x16x4f32 v[170:173], v91, v127, v[170:173]
	; sched_group_barrier mask(0x00000020) size(1) SyncID(0)
	v_mfma_f32_16x16x4f32 v[170:173], v92, v128, v[170:173]
	v_mfma_f32_16x16x4f32 v[126:129], v93, v129, v[170:173]
	; sched_group_barrier mask(0x00000008) size(3) SyncID(0)
	s_nop 7
	s_nop 1
	v_lshlrev_b32_e32 v170, 2, v234
	v_add_u32_e32 v171, v226, v228
	v_add_u32_e32 v172, 0x4000, v170
	s_waitcnt vmcnt(15)
	ds_write2_b64 v172, v[34:35], v[36:37] offset1:1
	buffer_load_dwordx4 v[34:37], v171, s[4:7], 0 offen offset:512
	v_mfma_f32_16x16x4f32 v[166:169], v90, v134, v[166:169]
	v_add_u32_e32 v134, v199, v234
	v_add3_u32 v234, v134, v237, v242
	v_lshl_add_u32 v172, v234, 2, v233
	v_xor_b32_e32 v199, v238, v194
	v_add_u32_e32 v234, v234, v247
	v_add3_u32 v234, v234, v249, v240
	; sched_group_barrier mask(0x00000020) size(1) SyncID(0)
	v_mfma_f32_16x16x4f32 v[166:169], v91, v135, v[166:169]
	v_add_u32_e32 v135, v244, v170
	v_add_u32_e32 v170, v135, v243
	;; [unrolled: 1-line block ×4, first 2 shown]
	s_waitcnt vmcnt(9)
	ds_write2_b64 v134, v[70:71], v[72:73] offset1:1
	ds_write2_b64 v135, v[74:75], v[76:77] offset1:1
	;; [unrolled: 1-line block ×3, first 2 shown]
	v_mfma_f32_16x16x4f32 v[166:169], v92, v136, v[166:169]
	buffer_load_dwordx4 v[38:41], v171, s[4:7], 0 offen offset:528
	; sched_group_barrier mask(0x00000008) size(3) SyncID(0)
	; sched_group_barrier mask(0x00000020) size(1) SyncID(0)
	v_mfma_f32_16x16x4f32 v[70:73], v90, v122, v[162:165]
	v_add_u32_e32 v90, v172, v235
	ds_write2_b64 v90, v[42:43], v[44:45] offset1:1
	v_mfma_f32_16x16x4f32 v[70:73], v91, v123, v[70:73]
	v_add_u32_e32 v91, v170, v245
	v_add_u32_e32 v123, v90, v251
	v_add3_u32 v122, v91, v235, v248
	ds_write_b64 v122, v[56:57] offset:16648
	ds_write_b64 v123, v[54:55]
	v_add_u32_e32 v170, v226, v227
	v_mfma_f32_16x16x4f32 v[134:137], v93, v137, v[166:169]
	buffer_load_dwordx4 v[42:45], v171, s[4:7], 0 offen offset:544
	; sched_group_barrier mask(0x00000008) size(3) SyncID(0)
	; sched_group_barrier mask(0x00000020) size(1) SyncID(0)
	v_mfma_f32_16x16x4f32 v[70:73], v92, v124, v[70:73]
	v_mfma_f32_16x16x4f32 v[74:77], v110, v114, v[178:181]
	v_mfma_f32_16x16x4f32 v[90:93], v93, v125, v[70:73]
	; sched_group_barrier mask(0x00000008) size(3) SyncID(0)
	s_nop 7
	s_nop 0
	v_add_u32_e32 v70, v123, v241
	v_add_u32_e32 v71, v70, v252
	ds_write2_b64 v70, v[58:59], v[60:61] offset1:1
	ds_write2_b64 v71, v[14:15], v[16:17] offset1:1
	buffer_load_dwordx4 v[14:17], v171, s[4:7], 0 offen offset:560
	v_mfma_f32_16x16x4f32 v[54:57], v111, v115, v[74:77]
	; sched_group_barrier mask(0x00000020) size(1) SyncID(0)
	v_mfma_f32_16x16x4f32 v[54:57], v112, v116, v[54:57]
	v_mfma_f32_16x16x4f32 v[122:125], v113, v117, v[54:57]
	buffer_load_dwordx4 v[70:73], v170, s[4:7], 0 offen offset:512
	; sched_group_barrier mask(0x00000008) size(3) SyncID(0)
	; sched_group_barrier mask(0x00000020) size(1) SyncID(0)
	v_mfma_f32_16x16x4f32 v[54:57], v110, v118, v[174:177]
	v_mfma_f32_16x16x4f32 v[54:57], v111, v119, v[54:57]
	;; [unrolled: 1-line block ×3, first 2 shown]
	s_nop 0
	buffer_load_dwordx4 v[74:77], v170, s[4:7], 0 offen offset:528
	; sched_group_barrier mask(0x00000008) size(3) SyncID(0)
	; sched_group_barrier mask(0x00000020) size(1) SyncID(0)
	v_mfma_f32_16x16x4f32 v[58:61], v110, v150, v[182:185]
	v_mfma_f32_16x16x4f32 v[58:61], v111, v151, v[58:61]
	;; [unrolled: 1-line block ×3, first 2 shown]
	; sched_group_barrier mask(0x00000008) size(3) SyncID(0)
	s_nop 6
	buffer_load_dwordx4 v[54:57], v170, s[4:7], 0 offen offset:544
	v_mfma_f32_16x16x4f32 v[102:105], v110, v146, v[102:105]
	; sched_group_barrier mask(0x00000020) size(1) SyncID(0)
	v_mfma_f32_16x16x4f32 v[58:61], v112, v152, v[58:61]
	v_mfma_f32_16x16x4f32 v[166:169], v113, v153, v[58:61]
	; sched_group_barrier mask(0x00000008) size(3) SyncID(0)
	s_nop 7
	s_nop 1
	buffer_load_dwordx4 v[58:61], v170, s[4:7], 0 offen offset:560
	v_mfma_f32_16x16x4f32 v[102:105], v111, v147, v[102:105]
	s_waitcnt lgkmcnt(0)
	s_barrier
	; sched_group_barrier mask(0x00000020) size(1) SyncID(0)
	v_mfma_f32_16x16x4f32 v[102:105], v112, v148, v[102:105]
	v_mfma_f32_16x16x4f32 v[102:105], v113, v149, v[102:105]
	; sched_group_barrier mask(0x00000008) size(3) SyncID(0)
	; sched_group_barrier mask(0x00000020) size(1) SyncID(0)
	v_mfma_f32_16x16x4f32 v[106:109], v98, v114, v[106:109]
	v_mfma_f32_16x16x4f32 v[106:109], v99, v115, v[106:109]
	v_mfma_f32_16x16x4f32 v[106:109], v100, v116, v[106:109]
	; sched_group_barrier mask(0x00000008) size(3) SyncID(0)
	; sched_group_barrier mask(0x00000020) size(1) SyncID(0)
	v_mfma_f32_16x16x4f32 v[110:113], v98, v118, v[126:129]
	v_mfma_f32_16x16x4f32 v[110:113], v99, v119, v[110:113]
	v_mfma_f32_16x16x4f32 v[106:109], v101, v117, v[106:109]
	; sched_group_barrier mask(0x00000008) size(3) SyncID(0)
	; sched_group_barrier mask(0x00000020) size(1) SyncID(0)
	v_mfma_f32_16x16x4f32 v[114:117], v98, v150, v[134:137]
	v_mfma_f32_16x16x4f32 v[110:113], v100, v120, v[110:113]
	v_mfma_f32_16x16x4f32 v[110:113], v101, v121, v[110:113]
	; sched_group_barrier mask(0x00000008) size(3) SyncID(0)
	; sched_group_barrier mask(0x00000020) size(1) SyncID(0)
	v_mfma_f32_16x16x4f32 v[114:117], v99, v151, v[114:117]
	v_mfma_f32_16x16x4f32 v[114:117], v100, v152, v[114:117]
	v_mfma_f32_16x16x4f32 v[114:117], v101, v153, v[114:117]
	; sched_group_barrier mask(0x00000008) size(3) SyncID(0)
	; sched_group_barrier mask(0x00000020) size(1) SyncID(0)
	v_mfma_f32_16x16x4f32 v[90:93], v98, v146, v[90:93]
	v_mfma_f32_16x16x4f32 v[90:93], v99, v147, v[90:93]
	v_mfma_f32_16x16x4f32 v[90:93], v100, v148, v[90:93]
	; sched_group_barrier mask(0x00000008) size(3) SyncID(0)
	; sched_group_barrier mask(0x00000020) size(1) SyncID(0)
	v_mfma_f32_16x16x4f32 v[118:121], v130, v142, v[122:125]
	v_mfma_f32_16x16x4f32 v[90:93], v101, v149, v[90:93]
	v_mfma_f32_16x16x4f32 v[98:101], v131, v143, v[118:121]
	; sched_group_barrier mask(0x00000008) size(3) SyncID(0)
	; sched_group_barrier mask(0x00000020) size(1) SyncID(0)
	v_mfma_f32_16x16x4f32 v[118:121], v130, v154, v[162:165]
	v_mfma_f32_16x16x4f32 v[98:101], v132, v144, v[98:101]
	v_mfma_f32_16x16x4f32 v[98:101], v133, v145, v[98:101]
	; sched_group_barrier mask(0x00000008) size(3) SyncID(0)
	; sched_group_barrier mask(0x00000020) size(1) SyncID(0)
	v_mfma_f32_16x16x4f32 v[118:121], v131, v155, v[118:121]
	v_mfma_f32_16x16x4f32 v[118:121], v132, v156, v[118:121]
	v_mfma_f32_16x16x4f32 v[118:121], v133, v157, v[118:121]
	; sched_group_barrier mask(0x00000008) size(3) SyncID(0)
	; sched_group_barrier mask(0x00000020) size(1) SyncID(0)
	v_mfma_f32_16x16x4f32 v[122:125], v130, v158, v[166:169]
	v_mfma_f32_16x16x4f32 v[122:125], v131, v159, v[122:125]
	v_mfma_f32_16x16x4f32 v[122:125], v132, v160, v[122:125]
	; sched_group_barrier mask(0x00000008) size(3) SyncID(0)
	; sched_group_barrier mask(0x00000020) size(1) SyncID(0)
	v_mfma_f32_16x16x4f32 v[102:105], v130, v138, v[102:105]
	v_mfma_f32_16x16x4f32 v[102:105], v131, v139, v[102:105]
	v_mfma_f32_16x16x4f32 v[146:149], v133, v161, v[122:125]
	; sched_group_barrier mask(0x00000008) size(3) SyncID(0)
	; sched_group_barrier mask(0x00000020) size(1) SyncID(0)
	v_mfma_f32_16x16x4f32 v[106:109], v94, v142, v[106:109]
	v_mfma_f32_16x16x4f32 v[102:105], v132, v140, v[102:105]
	v_mfma_f32_16x16x4f32 v[170:173], v133, v141, v[102:105]
	; sched_group_barrier mask(0x00000008) size(3) SyncID(0)
	; sched_group_barrier mask(0x00000020) size(1) SyncID(0)
	v_mfma_f32_16x16x4f32 v[102:105], v95, v143, v[106:109]
	v_mfma_f32_16x16x4f32 v[102:105], v96, v144, v[102:105]
	v_mfma_f32_16x16x4f32 v[186:189], v97, v145, v[102:105]
	; sched_group_barrier mask(0x00000008) size(3) SyncID(0)
	; sched_group_barrier mask(0x00000020) size(1) SyncID(0)
	v_mfma_f32_16x16x4f32 v[102:105], v94, v154, v[110:113]
	v_mfma_f32_16x16x4f32 v[102:105], v95, v155, v[102:105]
	v_mfma_f32_16x16x4f32 v[102:105], v96, v156, v[102:105]
	; sched_group_barrier mask(0x00000008) size(3) SyncID(0)
	; sched_group_barrier mask(0x00000020) size(1) SyncID(0)
	v_mfma_f32_16x16x4f32 v[106:109], v94, v158, v[114:117]
	v_mfma_f32_16x16x4f32 v[190:193], v97, v157, v[102:105]
	v_mfma_f32_16x16x4f32 v[102:105], v95, v159, v[106:109]
	; sched_group_barrier mask(0x00000008) size(3) SyncID(0)
	; sched_group_barrier mask(0x00000020) size(1) SyncID(0)
	v_mfma_f32_16x16x4f32 v[90:93], v94, v138, v[90:93]
	v_mfma_f32_16x16x4f32 v[102:105], v96, v160, v[102:105]
	v_mfma_f32_16x16x4f32 v[102:105], v97, v161, v[102:105]
	; sched_group_barrier mask(0x00000008) size(3) SyncID(0)
	; sched_group_barrier mask(0x00000020) size(1) SyncID(0)
	v_mfma_f32_16x16x4f32 v[90:93], v95, v139, v[90:93]
	v_mfma_f32_16x16x4f32 v[90:93], v96, v140, v[90:93]
	v_mfma_f32_16x16x4f32 v[106:109], v6, v86, v[102:105]
	; sched_group_barrier mask(0x00000008) size(3) SyncID(0)
	v_mfma_f32_16x16x4f32 v[190:193], v6, v10, v[190:193]
	s_nop 6
	ds_read_b128 v[102:105], v200
	; sched_group_barrier mask(0x00000100) size(1) SyncID(0)
	v_mfma_f32_16x16x4f32 v[94:97], v97, v141, v[90:93]
	; sched_group_barrier mask(0x00000008) size(1) SyncID(0)
	v_mfma_f32_16x16x4f32 v[190:193], v7, v11, v[190:193]
	s_nop 5
	ds_read_b128 v[90:93], v201 offset:8192
	; sched_group_barrier mask(0x00000100) size(1) SyncID(0)
	v_mfma_f32_16x16x4f32 v[98:101], v82, v18, v[98:101]
	ds_read_b128 v[114:117], v208 offset:16384
	; sched_group_barrier mask(0x00000008) size(1) SyncID(0)
	; sched_group_barrier mask(0x00000100) size(1) SyncID(0)
	v_mfma_f32_16x16x4f32 v[106:109], v7, v87, v[106:109]
	ds_read_b128 v[130:133], v212
	; sched_group_barrier mask(0x00000008) size(1) SyncID(0)
	; sched_group_barrier mask(0x00000100) size(1) SyncID(0)
	v_mfma_f32_16x16x4f32 v[98:101], v83, v19, v[98:101]
	ds_read_b128 v[142:145], v214 offset:16384
	; sched_group_barrier mask(0x00000008) size(1) SyncID(0)
	; sched_group_barrier mask(0x00000100) size(1) SyncID(0)
	v_mfma_f32_16x16x4f32 v[110:113], v8, v88, v[106:109]
	; sched_group_barrier mask(0x00000008) size(1) SyncID(0)
	v_mfma_f32_16x16x4f32 v[190:193], v8, v12, v[190:193]
	s_nop 5
	ds_read_b128 v[106:109], v202 offset:16384
	; sched_group_barrier mask(0x00000100) size(1) SyncID(0)
	v_mfma_f32_16x16x4f32 v[94:97], v6, v78, v[94:97]
	; sched_group_barrier mask(0x00000008) size(1) SyncID(0)
	v_mfma_f32_16x16x4f32 v[98:101], v84, v20, v[98:101]
	v_mfma_f32_16x16x4f32 v[166:169], v9, v89, v[110:113]
	;; [unrolled: 1-line block ×3, first 2 shown]
	s_nop 5
	v_add_u32_e32 v110, v202, v203
	v_mfma_f32_16x16x4f32 v[182:185], v85, v21, v[98:101]
	s_nop 6
	v_add_u32_e32 v98, v202, v204
	ds_read_b128 v[134:137], v98 offset:24576
	v_mfma_f32_16x16x4f32 v[98:101], v82, v10, v[118:121]
	v_mfma_f32_16x16x4f32 v[94:97], v8, v80, v[94:97]
	;; [unrolled: 1-line block ×7, first 2 shown]
	v_add_u32_e32 v86, v202, v209
	ds_read_b128 v[118:121], v86 offset:20480
	v_add_u32_e32 v86, v202, v210
	v_mfma_f32_16x16x4f32 v[94:97], v83, v87, v[94:97]
	ds_read_b128 v[150:153], v86 offset:24576
	v_add_u32_e32 v86, v202, v211
	v_mfma_f32_16x16x4f32 v[94:97], v84, v88, v[94:97]
	ds_read_b128 v[146:149], v86 offset:28672
	v_mfma_f32_16x16x4f32 v[174:177], v85, v89, v[94:97]
	v_mfma_f32_16x16x4f32 v[86:89], v82, v78, v[170:173]
	v_add_u32_e32 v78, v202, v215
	ds_read_b128 v[154:157], v78 offset:20480
	v_add_u32_e32 v78, v202, v216
	v_mfma_f32_16x16x4f32 v[86:89], v83, v79, v[86:89]
	ds_read_b128 v[158:161], v78 offset:24576
	v_mfma_f32_16x16x4f32 v[86:89], v84, v80, v[86:89]
	v_mfma_f32_16x16x4f32 v[170:173], v85, v81, v[86:89]
	v_mfma_f32_16x16x4f32 v[78:81], v6, v18, v[186:189]
	v_add_u32_e32 v6, v202, v223
	v_add_u32_e32 v18, v202, v217
	v_mfma_f32_16x16x4f32 v[78:81], v7, v19, v[78:81]
	v_sub_u32_e32 v7, v199, v236
	v_lshlrev_b32_e32 v236, 2, v7
	v_add3_u32 v235, v253, v250, v236
	v_add3_u32 v234, v234, v250, v236
	v_mfma_f32_16x16x4f32 v[78:81], v8, v20, v[78:81]
	v_mfma_f32_16x16x4f32 v[186:189], v9, v21, v[78:81]
	s_nop 7
	s_nop 1
	ds_read_b128 v[78:81], v6 offset:28672
	v_add_u32_e32 v6, v202, v221
	v_mfma_f32_16x16x4f32 v[190:193], v9, v13, v[190:193]
	ds_read_b128 v[10:13], v6 offset:20480
	ds_read_b128 v[6:9], v219 offset:8192
	;; [unrolled: 1-line block ×3, first 2 shown]
	v_add_u32_e32 v110, v202, v205
	ds_read_b128 v[122:125], v110 offset:28672
	ds_read_b128 v[110:113], v206
	ds_read_b128 v[138:141], v18 offset:28672
	v_add_u32_e32 v18, v202, v222
	ds_read_b128 v[86:89], v18 offset:24576
	ds_read_b128 v[18:21], v220 offset:16384
	;; [unrolled: 1-line block ×3, first 2 shown]
	ds_read_b128 v[82:85], v218
	ds_read_b128 v[94:97], v213 offset:8192
	; sched_group_barrier mask(0x00000100) size(1) SyncID(0)
	; sched_group_barrier mask(0x00000008) size(1) SyncID(0)
	;; [unrolled: 1-line block ×36, first 2 shown]
	; sched_barrier mask(0x00000000)
	s_add_i32 s18, s18, -1
	v_add_u32_e32 v227, 0x100, v227
	v_add_u32_e32 v228, 0x100, v228
	;; [unrolled: 1-line block ×4, first 2 shown]
	s_cmp_lg_u32 s18, 0
	v_add_u32_e32 v231, 0x100, v231
	s_cbranch_scc1 .LBB2_11
; %bb.12:
	s_waitcnt vmcnt(12) lgkmcnt(14)
	v_mfma_f32_16x16x4f32 v[2:5], v102, v106, v[182:185]
	s_lshl_b64 s[0:1], s[10:11], 2
	s_add_u32 s24, s8, s0
	s_mul_i32 s15, s15, s21
	s_mul_hi_u32 s0, s14, s21
	s_addc_u32 s25, s9, s1
	s_add_i32 s2, s0, s15
	v_lshlrev_b32_e32 v0, 3, v0
	s_waitcnt vmcnt(4) lgkmcnt(8)
	v_mfma_f32_16x16x4f32 v[14:17], v102, v126, v[178:181]
	s_movk_i32 s0, 0x380
	v_and_or_b32 v47, v0, s0, v198
	v_and_b32_e32 v0, 24, v0
	v_or_b32_e32 v46, s13, v0
	v_lshl_or_b32 v50, s12, 6, v1
	v_mad_u64_u32 v[48:49], s[0:1], v50, s21, v[46:47]
	v_mfma_f32_16x16x4f32 v[2:5], v103, v107, v[2:5]
	v_lshlrev_b32_e32 v0, 2, v0
	v_lshlrev_b32_e32 v47, 2, v47
	v_lshl_or_b32 v49, v1, 7, v0
	s_waitcnt lgkmcnt(0)
	s_barrier
	v_cmp_gt_i32_e32 vcc, s17, v46
	v_cmp_gt_i32_e64 s[6:7], s16, v50
	v_mfma_f32_16x16x4f32 v[14:17], v103, v127, v[14:17]
	s_add_i32 s0, s17, s2
	s_lshl_b32 s26, s0, 2
	v_bfrev_b32_e32 v51, 1
	s_and_b64 s[0:1], s[6:7], vcc
	s_mov_b32 s27, 0x20000
	v_mfma_f32_16x16x4f32 v[2:5], v104, v108, v[2:5]
	v_mfma_f32_16x16x4f32 v[14:17], v104, v128, v[14:17]
	;; [unrolled: 1-line block ×89, first 2 shown]
	s_nop 7
	s_nop 1
	ds_write2_b32 v47, v5, v17 offset0:96 offset1:112
	ds_write2_b32 v47, v4, v16 offset0:64 offset1:80
	;; [unrolled: 1-line block ×3, first 2 shown]
	ds_write2_b32 v47, v2, v14 offset1:16
	s_waitcnt lgkmcnt(0)
	s_barrier
	ds_read2_b64 v[14:17], v49 offset1:1
	v_lshlrev_b32_e32 v4, 2, v48
	v_cndmask_b32_e64 v5, v51, 0, s[0:1]
	v_mfma_f32_16x16x4f32 v[30:33], v97, v145, v[30:33]
	v_add_u32_e32 v5, v5, v4
	s_waitcnt lgkmcnt(0)
	buffer_store_dwordx2 v[14:15], v5, s[24:27], 0 offen
	v_or_b32_e32 v5, 2, v46
	v_cmp_gt_i32_e64 s[0:1], s17, v5
	s_and_b64 s[2:3], s[6:7], s[0:1]
	v_cndmask_b32_e64 v5, v51, 0, s[2:3]
	v_add_u32_e32 v5, v4, v5
	v_mfma_f32_16x16x4f32 v[38:41], v95, v159, v[38:41]
	buffer_store_dwordx2 v[16:17], v5, s[24:27], 0 offen offset:8
	v_or_b32_e32 v5, 4, v46
	v_cmp_gt_i32_e64 s[2:3], s17, v5
	s_and_b64 s[4:5], s[6:7], s[2:3]
	v_cndmask_b32_e64 v5, v51, 0, s[4:5]
	v_add_u32_e32 v5, v4, v5
	v_mfma_f32_16x16x4f32 v[42:45], v95, v139, v[42:45]
	v_mfma_f32_16x16x4f32 v[22:25], v83, v87, v[22:25]
	;; [unrolled: 1-line block ×5, first 2 shown]
	v_add_u32_e32 v18, 32, v48
	v_mfma_f32_16x16x4f32 v[38:41], v96, v160, v[38:41]
	v_mfma_f32_16x16x4f32 v[42:45], v96, v140, v[42:45]
	;; [unrolled: 1-line block ×6, first 2 shown]
	s_nop 6
	ds_read2_b64 v[30:33], v49 offset0:2 offset1:3
	v_mfma_f32_16x16x4f32 v[38:41], v97, v161, v[38:41]
	s_waitcnt lgkmcnt(0)
	buffer_store_dwordx2 v[30:31], v5, s[24:27], 0 offen offset:16
	v_or_b32_e32 v5, 6, v46
	v_cmp_gt_i32_e64 s[4:5], s17, v5
	s_and_b64 s[8:9], s[6:7], s[4:5]
	v_mfma_f32_16x16x4f32 v[42:45], v97, v141, v[42:45]
	v_cndmask_b32_e64 v5, v51, 0, s[8:9]
	v_add_u32_e32 v5, v4, v5
	buffer_store_dwordx2 v[32:33], v5, s[24:27], 0 offen offset:24
	s_waitcnt lgkmcnt(0)
	s_barrier
	v_or_b32_e32 v5, 32, v46
	v_cmp_gt_i32_e64 s[8:9], s17, v5
	v_mfma_f32_16x16x4f32 v[22:25], v85, v89, v[22:25]
	s_and_b64 s[10:11], s[6:7], s[8:9]
	v_cndmask_b32_e64 v5, v51, 0, s[10:11]
	v_lshl_add_u32 v5, v18, 2, v5
	v_mfma_f32_16x16x4f32 v[26:29], v85, v81, v[26:29]
	v_mfma_f32_16x16x4f32 v[34:37], v94, v154, v[34:37]
	s_nop 7
	s_nop 1
	ds_write2_b32 v47, v25, v29 offset0:96 offset1:112
	ds_write2_b32 v47, v24, v28 offset0:64 offset1:80
	;; [unrolled: 1-line block ×3, first 2 shown]
	ds_write2_b32 v47, v22, v26 offset1:16
	s_waitcnt lgkmcnt(0)
	s_barrier
	ds_read2_b64 v[22:25], v49 offset1:1
	ds_read2_b64 v[30:33], v49 offset0:2 offset1:3
	s_waitcnt lgkmcnt(1)
	buffer_store_dwordx2 v[22:23], v5, s[24:27], 0 offen
	v_mfma_f32_16x16x4f32 v[38:41], v6, v86, v[38:41]
	v_or_b32_e32 v5, 34, v46
	v_cmp_gt_i32_e64 s[10:11], s17, v5
	s_and_b64 s[12:13], s[6:7], s[10:11]
	v_cndmask_b32_e64 v5, v51, 0, s[12:13]
	v_add_u32_e32 v5, v4, v5
	buffer_store_dwordx2 v[24:25], v5, s[24:27], 0 offen offset:136
	v_or_b32_e32 v5, 36, v46
	v_mfma_f32_16x16x4f32 v[26:29], v6, v78, v[42:45]
	v_cmp_gt_i32_e64 s[12:13], s17, v5
	s_and_b64 s[14:15], s[6:7], s[12:13]
	v_cndmask_b32_e64 v5, v51, 0, s[14:15]
	v_add_u32_e32 v5, v4, v5
	s_waitcnt lgkmcnt(0)
	buffer_store_dwordx2 v[30:31], v5, s[24:27], 0 offen offset:144
	v_or_b32_e32 v5, 38, v46
	v_cmp_gt_i32_e64 s[14:15], s17, v5
	v_mfma_f32_16x16x4f32 v[34:37], v95, v155, v[34:37]
	s_and_b64 s[6:7], s[6:7], s[14:15]
	s_lshl_b32 s17, s21, 5
	v_cndmask_b32_e64 v5, v51, 0, s[6:7]
	v_add_u32_e32 v4, v4, v5
	buffer_store_dwordx2 v[32:33], v4, s[24:27], 0 offen offset:152
	v_or_b32_e32 v4, 32, v50
	s_waitcnt lgkmcnt(0)
	v_mfma_f32_16x16x4f32 v[14:17], v7, v87, v[38:41]
	s_barrier
	v_cmp_gt_i32_e64 s[6:7], s16, v4
	s_and_b64 s[8:9], s[6:7], s[8:9]
	v_cndmask_b32_e64 v4, v51, 0, s[8:9]
	s_and_b64 s[8:9], s[6:7], s[10:11]
	s_and_b64 s[0:1], s[6:7], s[0:1]
	v_mfma_f32_16x16x4f32 v[26:29], v7, v79, v[26:29]
	v_mfma_f32_16x16x4f32 v[34:37], v96, v156, v[34:37]
	;; [unrolled: 1-line block ×5, first 2 shown]
	s_nop 6
	v_add_lshl_u32 v26, v18, s17, 2
	v_add_u32_e32 v4, v26, v4
	v_mfma_f32_16x16x4f32 v[0:3], v8, v20, v[0:3]
	v_mfma_f32_16x16x4f32 v[14:17], v9, v89, v[14:17]
	;; [unrolled: 1-line block ×3, first 2 shown]
	s_nop 7
	s_nop 2
	ds_write2_b32 v47, v17, v25 offset0:96 offset1:112
	ds_write2_b32 v47, v16, v24 offset0:64 offset1:80
	v_mfma_f32_16x16x4f32 v[0:3], v9, v21, v[0:3]
	ds_write2_b32 v47, v15, v23 offset0:32 offset1:48
	ds_write2_b32 v47, v14, v22 offset1:16
	s_waitcnt lgkmcnt(0)
	s_barrier
	ds_read2_b64 v[14:17], v49 offset1:1
	ds_read2_b64 v[22:25], v49 offset0:2 offset1:3
	s_waitcnt lgkmcnt(1)
	buffer_store_dwordx2 v[14:15], v4, s[24:27], 0 offen
	v_mfma_f32_16x16x4f32 v[18:21], v6, v10, v[34:37]
	v_mov_b32_e32 v4, 0x80000008
	v_cndmask_b32_e64 v10, v4, 8, s[8:9]
	v_add_u32_e32 v10, v26, v10
	buffer_store_dwordx2 v[16:17], v10, s[24:27], 0 offen
	v_mov_b32_e32 v10, 0x80000010
	s_and_b64 s[8:9], s[6:7], s[12:13]
	v_cndmask_b32_e64 v10, v10, 16, s[8:9]
	v_mfma_f32_16x16x4f32 v[4:7], v7, v11, v[18:21]
	s_and_b64 s[8:9], s[6:7], s[14:15]
	v_add_u32_e32 v10, v26, v10
	s_waitcnt lgkmcnt(0)
	buffer_store_dwordx2 v[22:23], v10, s[24:27], 0 offen
	v_mfma_f32_16x16x4f32 v[4:7], v8, v12, v[4:7]
	v_mov_b32_e32 v8, 0x80000018
	v_cndmask_b32_e64 v8, v8, 24, s[8:9]
	v_add_u32_e32 v8, v26, v8
	buffer_store_dwordx2 v[24:25], v8, s[24:27], 0 offen
	s_waitcnt lgkmcnt(0)
	s_barrier
	s_and_b64 s[8:9], vcc, s[6:7]
	v_mfma_f32_16x16x4f32 v[4:7], v9, v13, v[4:7]
	s_nop 7
	s_nop 2
	ds_write2_b32 v47, v3, v7 offset0:96 offset1:112
	ds_write2_b32 v47, v2, v6 offset0:64 offset1:80
	;; [unrolled: 1-line block ×3, first 2 shown]
	ds_write2_b32 v47, v0, v4 offset1:16
	s_waitcnt lgkmcnt(0)
	s_barrier
	ds_read2_b64 v[0:3], v49 offset1:1
	v_add_lshl_u32 v8, v48, s17, 2
	v_cndmask_b32_e64 v4, v51, 0, s[8:9]
	v_add_u32_e32 v9, v4, v8
	ds_read2_b64 v[4:7], v49 offset0:2 offset1:3
	s_waitcnt lgkmcnt(1)
	buffer_store_dwordx2 v[0:1], v9, s[24:27], 0 offen
	v_cndmask_b32_e64 v0, v51, 0, s[0:1]
	v_add_u32_e32 v0, v8, v0
	s_and_b64 s[0:1], s[6:7], s[2:3]
	buffer_store_dwordx2 v[2:3], v0, s[24:27], 0 offen offset:8
	v_cndmask_b32_e64 v0, v51, 0, s[0:1]
	v_add_u32_e32 v0, v8, v0
	s_and_b64 s[0:1], s[6:7], s[4:5]
	s_waitcnt lgkmcnt(0)
	buffer_store_dwordx2 v[4:5], v0, s[24:27], 0 offen offset:16
	v_cndmask_b32_e64 v0, v51, 0, s[0:1]
	v_add_u32_e32 v0, v8, v0
	buffer_store_dwordx2 v[6:7], v0, s[24:27], 0 offen offset:24
	s_endpgm
	.section	.rodata,"a",@progbits
	.p2align	6, 0x0
	.amdhsa_kernel _ZN2ck27kernel_gemm_xdl_cshuffle_v3INS_28GridwiseGemm_xdl_cshuffle_v3INS_13tensor_layout4gemm8RowMajorENS3_11ColumnMajorES4_fffffNS_16tensor_operation12element_wise11PassThroughES8_S8_LNS6_6device18GemmSpecializationE0ELi128ELi64ELi64ELi64ELi4ELi4ELi16ELi16ELi2ELi4ENS_8SequenceIJLi4ELi32ELi1EEEENSB_IJLi1ELi0ELi2EEEESD_Li2ELi2ELi2ELb0ELi0ESC_SD_SD_Li2ELi2ELi2ELb0ELi0ELi1ELi2ENSB_IJLi1ELi32ELi1ELi4EEEELi2ELNS_26BlockGemmPipelineSchedulerE0ELNS_24BlockGemmPipelineVersionE2EffLb0ELb0ELb0ELi0ELb0EEELb1ELNS_25InMemoryDataOperationEnumE0ELi2ELNS_10TailNumberE10EEEvNT_8ArgumentE
		.amdhsa_group_segment_fixed_size 32768
		.amdhsa_private_segment_fixed_size 0
		.amdhsa_kernarg_size 112
		.amdhsa_user_sgpr_count 6
		.amdhsa_user_sgpr_private_segment_buffer 1
		.amdhsa_user_sgpr_dispatch_ptr 0
		.amdhsa_user_sgpr_queue_ptr 0
		.amdhsa_user_sgpr_kernarg_segment_ptr 1
		.amdhsa_user_sgpr_dispatch_id 0
		.amdhsa_user_sgpr_flat_scratch_init 0
		.amdhsa_user_sgpr_kernarg_preload_length 0
		.amdhsa_user_sgpr_kernarg_preload_offset 0
		.amdhsa_user_sgpr_private_segment_size 0
		.amdhsa_uses_dynamic_stack 0
		.amdhsa_system_sgpr_private_segment_wavefront_offset 0
		.amdhsa_system_sgpr_workgroup_id_x 1
		.amdhsa_system_sgpr_workgroup_id_y 0
		.amdhsa_system_sgpr_workgroup_id_z 1
		.amdhsa_system_sgpr_workgroup_info 0
		.amdhsa_system_vgpr_workitem_id 0
		.amdhsa_next_free_vgpr 254
		.amdhsa_next_free_sgpr 28
		.amdhsa_accum_offset 256
		.amdhsa_reserve_vcc 1
		.amdhsa_reserve_flat_scratch 0
		.amdhsa_float_round_mode_32 0
		.amdhsa_float_round_mode_16_64 0
		.amdhsa_float_denorm_mode_32 3
		.amdhsa_float_denorm_mode_16_64 3
		.amdhsa_dx10_clamp 1
		.amdhsa_ieee_mode 1
		.amdhsa_fp16_overflow 0
		.amdhsa_tg_split 0
		.amdhsa_exception_fp_ieee_invalid_op 0
		.amdhsa_exception_fp_denorm_src 0
		.amdhsa_exception_fp_ieee_div_zero 0
		.amdhsa_exception_fp_ieee_overflow 0
		.amdhsa_exception_fp_ieee_underflow 0
		.amdhsa_exception_fp_ieee_inexact 0
		.amdhsa_exception_int_div_zero 0
	.end_amdhsa_kernel
	.section	.text._ZN2ck27kernel_gemm_xdl_cshuffle_v3INS_28GridwiseGemm_xdl_cshuffle_v3INS_13tensor_layout4gemm8RowMajorENS3_11ColumnMajorES4_fffffNS_16tensor_operation12element_wise11PassThroughES8_S8_LNS6_6device18GemmSpecializationE0ELi128ELi64ELi64ELi64ELi4ELi4ELi16ELi16ELi2ELi4ENS_8SequenceIJLi4ELi32ELi1EEEENSB_IJLi1ELi0ELi2EEEESD_Li2ELi2ELi2ELb0ELi0ESC_SD_SD_Li2ELi2ELi2ELb0ELi0ELi1ELi2ENSB_IJLi1ELi32ELi1ELi4EEEELi2ELNS_26BlockGemmPipelineSchedulerE0ELNS_24BlockGemmPipelineVersionE2EffLb0ELb0ELb0ELi0ELb0EEELb1ELNS_25InMemoryDataOperationEnumE0ELi2ELNS_10TailNumberE10EEEvNT_8ArgumentE,"axG",@progbits,_ZN2ck27kernel_gemm_xdl_cshuffle_v3INS_28GridwiseGemm_xdl_cshuffle_v3INS_13tensor_layout4gemm8RowMajorENS3_11ColumnMajorES4_fffffNS_16tensor_operation12element_wise11PassThroughES8_S8_LNS6_6device18GemmSpecializationE0ELi128ELi64ELi64ELi64ELi4ELi4ELi16ELi16ELi2ELi4ENS_8SequenceIJLi4ELi32ELi1EEEENSB_IJLi1ELi0ELi2EEEESD_Li2ELi2ELi2ELb0ELi0ESC_SD_SD_Li2ELi2ELi2ELb0ELi0ELi1ELi2ENSB_IJLi1ELi32ELi1ELi4EEEELi2ELNS_26BlockGemmPipelineSchedulerE0ELNS_24BlockGemmPipelineVersionE2EffLb0ELb0ELb0ELi0ELb0EEELb1ELNS_25InMemoryDataOperationEnumE0ELi2ELNS_10TailNumberE10EEEvNT_8ArgumentE,comdat
.Lfunc_end2:
	.size	_ZN2ck27kernel_gemm_xdl_cshuffle_v3INS_28GridwiseGemm_xdl_cshuffle_v3INS_13tensor_layout4gemm8RowMajorENS3_11ColumnMajorES4_fffffNS_16tensor_operation12element_wise11PassThroughES8_S8_LNS6_6device18GemmSpecializationE0ELi128ELi64ELi64ELi64ELi4ELi4ELi16ELi16ELi2ELi4ENS_8SequenceIJLi4ELi32ELi1EEEENSB_IJLi1ELi0ELi2EEEESD_Li2ELi2ELi2ELb0ELi0ESC_SD_SD_Li2ELi2ELi2ELb0ELi0ELi1ELi2ENSB_IJLi1ELi32ELi1ELi4EEEELi2ELNS_26BlockGemmPipelineSchedulerE0ELNS_24BlockGemmPipelineVersionE2EffLb0ELb0ELb0ELi0ELb0EEELb1ELNS_25InMemoryDataOperationEnumE0ELi2ELNS_10TailNumberE10EEEvNT_8ArgumentE, .Lfunc_end2-_ZN2ck27kernel_gemm_xdl_cshuffle_v3INS_28GridwiseGemm_xdl_cshuffle_v3INS_13tensor_layout4gemm8RowMajorENS3_11ColumnMajorES4_fffffNS_16tensor_operation12element_wise11PassThroughES8_S8_LNS6_6device18GemmSpecializationE0ELi128ELi64ELi64ELi64ELi4ELi4ELi16ELi16ELi2ELi4ENS_8SequenceIJLi4ELi32ELi1EEEENSB_IJLi1ELi0ELi2EEEESD_Li2ELi2ELi2ELb0ELi0ESC_SD_SD_Li2ELi2ELi2ELb0ELi0ELi1ELi2ENSB_IJLi1ELi32ELi1ELi4EEEELi2ELNS_26BlockGemmPipelineSchedulerE0ELNS_24BlockGemmPipelineVersionE2EffLb0ELb0ELb0ELi0ELb0EEELb1ELNS_25InMemoryDataOperationEnumE0ELi2ELNS_10TailNumberE10EEEvNT_8ArgumentE
                                        ; -- End function
	.section	.AMDGPU.csdata,"",@progbits
; Kernel info:
; codeLenInByte = 6972
; NumSgprs: 32
; NumVgprs: 254
; NumAgprs: 0
; TotalNumVgprs: 254
; ScratchSize: 0
; MemoryBound: 0
; FloatMode: 240
; IeeeMode: 1
; LDSByteSize: 32768 bytes/workgroup (compile time only)
; SGPRBlocks: 3
; VGPRBlocks: 31
; NumSGPRsForWavesPerEU: 32
; NumVGPRsForWavesPerEU: 254
; AccumOffset: 256
; Occupancy: 1
; WaveLimiterHint : 0
; COMPUTE_PGM_RSRC2:SCRATCH_EN: 0
; COMPUTE_PGM_RSRC2:USER_SGPR: 6
; COMPUTE_PGM_RSRC2:TRAP_HANDLER: 0
; COMPUTE_PGM_RSRC2:TGID_X_EN: 1
; COMPUTE_PGM_RSRC2:TGID_Y_EN: 0
; COMPUTE_PGM_RSRC2:TGID_Z_EN: 1
; COMPUTE_PGM_RSRC2:TIDIG_COMP_CNT: 0
; COMPUTE_PGM_RSRC3_GFX90A:ACCUM_OFFSET: 63
; COMPUTE_PGM_RSRC3_GFX90A:TG_SPLIT: 0
	.section	.text._ZN2ck27kernel_gemm_xdl_cshuffle_v3INS_28GridwiseGemm_xdl_cshuffle_v3INS_13tensor_layout4gemm8RowMajorENS3_11ColumnMajorES4_fffffNS_16tensor_operation12element_wise11PassThroughES8_S8_LNS6_6device18GemmSpecializationE0ELi128ELi64ELi64ELi64ELi4ELi4ELi16ELi16ELi2ELi2ENS_8SequenceIJLi4ELi32ELi1EEEENSB_IJLi1ELi0ELi2EEEESD_Li2ELi2ELi2ELb0ELi0ESC_SD_SD_Li2ELi2ELi2ELb0ELi0ELi1ELi2ENSB_IJLi1ELi32ELi1ELi4EEEELi2ELNS_26BlockGemmPipelineSchedulerE0ELNS_24BlockGemmPipelineVersionE2EffLb0ELb0ELb0ELi0ELb0EEELb1ELNS_25InMemoryDataOperationEnumE1ELi2ELNS_10TailNumberE10EEEvNT_8ArgumentE,"axG",@progbits,_ZN2ck27kernel_gemm_xdl_cshuffle_v3INS_28GridwiseGemm_xdl_cshuffle_v3INS_13tensor_layout4gemm8RowMajorENS3_11ColumnMajorES4_fffffNS_16tensor_operation12element_wise11PassThroughES8_S8_LNS6_6device18GemmSpecializationE0ELi128ELi64ELi64ELi64ELi4ELi4ELi16ELi16ELi2ELi2ENS_8SequenceIJLi4ELi32ELi1EEEENSB_IJLi1ELi0ELi2EEEESD_Li2ELi2ELi2ELb0ELi0ESC_SD_SD_Li2ELi2ELi2ELb0ELi0ELi1ELi2ENSB_IJLi1ELi32ELi1ELi4EEEELi2ELNS_26BlockGemmPipelineSchedulerE0ELNS_24BlockGemmPipelineVersionE2EffLb0ELb0ELb0ELi0ELb0EEELb1ELNS_25InMemoryDataOperationEnumE1ELi2ELNS_10TailNumberE10EEEvNT_8ArgumentE,comdat
	.protected	_ZN2ck27kernel_gemm_xdl_cshuffle_v3INS_28GridwiseGemm_xdl_cshuffle_v3INS_13tensor_layout4gemm8RowMajorENS3_11ColumnMajorES4_fffffNS_16tensor_operation12element_wise11PassThroughES8_S8_LNS6_6device18GemmSpecializationE0ELi128ELi64ELi64ELi64ELi4ELi4ELi16ELi16ELi2ELi2ENS_8SequenceIJLi4ELi32ELi1EEEENSB_IJLi1ELi0ELi2EEEESD_Li2ELi2ELi2ELb0ELi0ESC_SD_SD_Li2ELi2ELi2ELb0ELi0ELi1ELi2ENSB_IJLi1ELi32ELi1ELi4EEEELi2ELNS_26BlockGemmPipelineSchedulerE0ELNS_24BlockGemmPipelineVersionE2EffLb0ELb0ELb0ELi0ELb0EEELb1ELNS_25InMemoryDataOperationEnumE1ELi2ELNS_10TailNumberE10EEEvNT_8ArgumentE ; -- Begin function _ZN2ck27kernel_gemm_xdl_cshuffle_v3INS_28GridwiseGemm_xdl_cshuffle_v3INS_13tensor_layout4gemm8RowMajorENS3_11ColumnMajorES4_fffffNS_16tensor_operation12element_wise11PassThroughES8_S8_LNS6_6device18GemmSpecializationE0ELi128ELi64ELi64ELi64ELi4ELi4ELi16ELi16ELi2ELi2ENS_8SequenceIJLi4ELi32ELi1EEEENSB_IJLi1ELi0ELi2EEEESD_Li2ELi2ELi2ELb0ELi0ESC_SD_SD_Li2ELi2ELi2ELb0ELi0ELi1ELi2ENSB_IJLi1ELi32ELi1ELi4EEEELi2ELNS_26BlockGemmPipelineSchedulerE0ELNS_24BlockGemmPipelineVersionE2EffLb0ELb0ELb0ELi0ELb0EEELb1ELNS_25InMemoryDataOperationEnumE1ELi2ELNS_10TailNumberE10EEEvNT_8ArgumentE
	.globl	_ZN2ck27kernel_gemm_xdl_cshuffle_v3INS_28GridwiseGemm_xdl_cshuffle_v3INS_13tensor_layout4gemm8RowMajorENS3_11ColumnMajorES4_fffffNS_16tensor_operation12element_wise11PassThroughES8_S8_LNS6_6device18GemmSpecializationE0ELi128ELi64ELi64ELi64ELi4ELi4ELi16ELi16ELi2ELi2ENS_8SequenceIJLi4ELi32ELi1EEEENSB_IJLi1ELi0ELi2EEEESD_Li2ELi2ELi2ELb0ELi0ESC_SD_SD_Li2ELi2ELi2ELb0ELi0ELi1ELi2ENSB_IJLi1ELi32ELi1ELi4EEEELi2ELNS_26BlockGemmPipelineSchedulerE0ELNS_24BlockGemmPipelineVersionE2EffLb0ELb0ELb0ELi0ELb0EEELb1ELNS_25InMemoryDataOperationEnumE1ELi2ELNS_10TailNumberE10EEEvNT_8ArgumentE
	.p2align	8
	.type	_ZN2ck27kernel_gemm_xdl_cshuffle_v3INS_28GridwiseGemm_xdl_cshuffle_v3INS_13tensor_layout4gemm8RowMajorENS3_11ColumnMajorES4_fffffNS_16tensor_operation12element_wise11PassThroughES8_S8_LNS6_6device18GemmSpecializationE0ELi128ELi64ELi64ELi64ELi4ELi4ELi16ELi16ELi2ELi2ENS_8SequenceIJLi4ELi32ELi1EEEENSB_IJLi1ELi0ELi2EEEESD_Li2ELi2ELi2ELb0ELi0ESC_SD_SD_Li2ELi2ELi2ELb0ELi0ELi1ELi2ENSB_IJLi1ELi32ELi1ELi4EEEELi2ELNS_26BlockGemmPipelineSchedulerE0ELNS_24BlockGemmPipelineVersionE2EffLb0ELb0ELb0ELi0ELb0EEELb1ELNS_25InMemoryDataOperationEnumE1ELi2ELNS_10TailNumberE10EEEvNT_8ArgumentE,@function
_ZN2ck27kernel_gemm_xdl_cshuffle_v3INS_28GridwiseGemm_xdl_cshuffle_v3INS_13tensor_layout4gemm8RowMajorENS3_11ColumnMajorES4_fffffNS_16tensor_operation12element_wise11PassThroughES8_S8_LNS6_6device18GemmSpecializationE0ELi128ELi64ELi64ELi64ELi4ELi4ELi16ELi16ELi2ELi2ENS_8SequenceIJLi4ELi32ELi1EEEENSB_IJLi1ELi0ELi2EEEESD_Li2ELi2ELi2ELb0ELi0ESC_SD_SD_Li2ELi2ELi2ELb0ELi0ELi1ELi2ENSB_IJLi1ELi32ELi1ELi4EEEELi2ELNS_26BlockGemmPipelineSchedulerE0ELNS_24BlockGemmPipelineVersionE2EffLb0ELb0ELb0ELi0ELb0EEELb1ELNS_25InMemoryDataOperationEnumE1ELi2ELNS_10TailNumberE10EEEvNT_8ArgumentE: ; @_ZN2ck27kernel_gemm_xdl_cshuffle_v3INS_28GridwiseGemm_xdl_cshuffle_v3INS_13tensor_layout4gemm8RowMajorENS3_11ColumnMajorES4_fffffNS_16tensor_operation12element_wise11PassThroughES8_S8_LNS6_6device18GemmSpecializationE0ELi128ELi64ELi64ELi64ELi4ELi4ELi16ELi16ELi2ELi2ENS_8SequenceIJLi4ELi32ELi1EEEENSB_IJLi1ELi0ELi2EEEESD_Li2ELi2ELi2ELb0ELi0ESC_SD_SD_Li2ELi2ELi2ELb0ELi0ELi1ELi2ENSB_IJLi1ELi32ELi1ELi4EEEELi2ELNS_26BlockGemmPipelineSchedulerE0ELNS_24BlockGemmPipelineVersionE2EffLb0ELb0ELb0ELi0ELb0EEELb1ELNS_25InMemoryDataOperationEnumE1ELi2ELNS_10TailNumberE10EEEvNT_8ArgumentE
; %bb.0:
	s_endpgm
	.section	.rodata,"a",@progbits
	.p2align	6, 0x0
	.amdhsa_kernel _ZN2ck27kernel_gemm_xdl_cshuffle_v3INS_28GridwiseGemm_xdl_cshuffle_v3INS_13tensor_layout4gemm8RowMajorENS3_11ColumnMajorES4_fffffNS_16tensor_operation12element_wise11PassThroughES8_S8_LNS6_6device18GemmSpecializationE0ELi128ELi64ELi64ELi64ELi4ELi4ELi16ELi16ELi2ELi2ENS_8SequenceIJLi4ELi32ELi1EEEENSB_IJLi1ELi0ELi2EEEESD_Li2ELi2ELi2ELb0ELi0ESC_SD_SD_Li2ELi2ELi2ELb0ELi0ELi1ELi2ENSB_IJLi1ELi32ELi1ELi4EEEELi2ELNS_26BlockGemmPipelineSchedulerE0ELNS_24BlockGemmPipelineVersionE2EffLb0ELb0ELb0ELi0ELb0EEELb1ELNS_25InMemoryDataOperationEnumE1ELi2ELNS_10TailNumberE10EEEvNT_8ArgumentE
		.amdhsa_group_segment_fixed_size 0
		.amdhsa_private_segment_fixed_size 0
		.amdhsa_kernarg_size 112
		.amdhsa_user_sgpr_count 6
		.amdhsa_user_sgpr_private_segment_buffer 1
		.amdhsa_user_sgpr_dispatch_ptr 0
		.amdhsa_user_sgpr_queue_ptr 0
		.amdhsa_user_sgpr_kernarg_segment_ptr 1
		.amdhsa_user_sgpr_dispatch_id 0
		.amdhsa_user_sgpr_flat_scratch_init 0
		.amdhsa_user_sgpr_kernarg_preload_length 0
		.amdhsa_user_sgpr_kernarg_preload_offset 0
		.amdhsa_user_sgpr_private_segment_size 0
		.amdhsa_uses_dynamic_stack 0
		.amdhsa_system_sgpr_private_segment_wavefront_offset 0
		.amdhsa_system_sgpr_workgroup_id_x 1
		.amdhsa_system_sgpr_workgroup_id_y 0
		.amdhsa_system_sgpr_workgroup_id_z 0
		.amdhsa_system_sgpr_workgroup_info 0
		.amdhsa_system_vgpr_workitem_id 0
		.amdhsa_next_free_vgpr 1
		.amdhsa_next_free_sgpr 0
		.amdhsa_accum_offset 4
		.amdhsa_reserve_vcc 0
		.amdhsa_reserve_flat_scratch 0
		.amdhsa_float_round_mode_32 0
		.amdhsa_float_round_mode_16_64 0
		.amdhsa_float_denorm_mode_32 3
		.amdhsa_float_denorm_mode_16_64 3
		.amdhsa_dx10_clamp 1
		.amdhsa_ieee_mode 1
		.amdhsa_fp16_overflow 0
		.amdhsa_tg_split 0
		.amdhsa_exception_fp_ieee_invalid_op 0
		.amdhsa_exception_fp_denorm_src 0
		.amdhsa_exception_fp_ieee_div_zero 0
		.amdhsa_exception_fp_ieee_overflow 0
		.amdhsa_exception_fp_ieee_underflow 0
		.amdhsa_exception_fp_ieee_inexact 0
		.amdhsa_exception_int_div_zero 0
	.end_amdhsa_kernel
	.section	.text._ZN2ck27kernel_gemm_xdl_cshuffle_v3INS_28GridwiseGemm_xdl_cshuffle_v3INS_13tensor_layout4gemm8RowMajorENS3_11ColumnMajorES4_fffffNS_16tensor_operation12element_wise11PassThroughES8_S8_LNS6_6device18GemmSpecializationE0ELi128ELi64ELi64ELi64ELi4ELi4ELi16ELi16ELi2ELi2ENS_8SequenceIJLi4ELi32ELi1EEEENSB_IJLi1ELi0ELi2EEEESD_Li2ELi2ELi2ELb0ELi0ESC_SD_SD_Li2ELi2ELi2ELb0ELi0ELi1ELi2ENSB_IJLi1ELi32ELi1ELi4EEEELi2ELNS_26BlockGemmPipelineSchedulerE0ELNS_24BlockGemmPipelineVersionE2EffLb0ELb0ELb0ELi0ELb0EEELb1ELNS_25InMemoryDataOperationEnumE1ELi2ELNS_10TailNumberE10EEEvNT_8ArgumentE,"axG",@progbits,_ZN2ck27kernel_gemm_xdl_cshuffle_v3INS_28GridwiseGemm_xdl_cshuffle_v3INS_13tensor_layout4gemm8RowMajorENS3_11ColumnMajorES4_fffffNS_16tensor_operation12element_wise11PassThroughES8_S8_LNS6_6device18GemmSpecializationE0ELi128ELi64ELi64ELi64ELi4ELi4ELi16ELi16ELi2ELi2ENS_8SequenceIJLi4ELi32ELi1EEEENSB_IJLi1ELi0ELi2EEEESD_Li2ELi2ELi2ELb0ELi0ESC_SD_SD_Li2ELi2ELi2ELb0ELi0ELi1ELi2ENSB_IJLi1ELi32ELi1ELi4EEEELi2ELNS_26BlockGemmPipelineSchedulerE0ELNS_24BlockGemmPipelineVersionE2EffLb0ELb0ELb0ELi0ELb0EEELb1ELNS_25InMemoryDataOperationEnumE1ELi2ELNS_10TailNumberE10EEEvNT_8ArgumentE,comdat
.Lfunc_end3:
	.size	_ZN2ck27kernel_gemm_xdl_cshuffle_v3INS_28GridwiseGemm_xdl_cshuffle_v3INS_13tensor_layout4gemm8RowMajorENS3_11ColumnMajorES4_fffffNS_16tensor_operation12element_wise11PassThroughES8_S8_LNS6_6device18GemmSpecializationE0ELi128ELi64ELi64ELi64ELi4ELi4ELi16ELi16ELi2ELi2ENS_8SequenceIJLi4ELi32ELi1EEEENSB_IJLi1ELi0ELi2EEEESD_Li2ELi2ELi2ELb0ELi0ESC_SD_SD_Li2ELi2ELi2ELb0ELi0ELi1ELi2ENSB_IJLi1ELi32ELi1ELi4EEEELi2ELNS_26BlockGemmPipelineSchedulerE0ELNS_24BlockGemmPipelineVersionE2EffLb0ELb0ELb0ELi0ELb0EEELb1ELNS_25InMemoryDataOperationEnumE1ELi2ELNS_10TailNumberE10EEEvNT_8ArgumentE, .Lfunc_end3-_ZN2ck27kernel_gemm_xdl_cshuffle_v3INS_28GridwiseGemm_xdl_cshuffle_v3INS_13tensor_layout4gemm8RowMajorENS3_11ColumnMajorES4_fffffNS_16tensor_operation12element_wise11PassThroughES8_S8_LNS6_6device18GemmSpecializationE0ELi128ELi64ELi64ELi64ELi4ELi4ELi16ELi16ELi2ELi2ENS_8SequenceIJLi4ELi32ELi1EEEENSB_IJLi1ELi0ELi2EEEESD_Li2ELi2ELi2ELb0ELi0ESC_SD_SD_Li2ELi2ELi2ELb0ELi0ELi1ELi2ENSB_IJLi1ELi32ELi1ELi4EEEELi2ELNS_26BlockGemmPipelineSchedulerE0ELNS_24BlockGemmPipelineVersionE2EffLb0ELb0ELb0ELi0ELb0EEELb1ELNS_25InMemoryDataOperationEnumE1ELi2ELNS_10TailNumberE10EEEvNT_8ArgumentE
                                        ; -- End function
	.section	.AMDGPU.csdata,"",@progbits
; Kernel info:
; codeLenInByte = 4
; NumSgprs: 4
; NumVgprs: 0
; NumAgprs: 0
; TotalNumVgprs: 0
; ScratchSize: 0
; MemoryBound: 0
; FloatMode: 240
; IeeeMode: 1
; LDSByteSize: 0 bytes/workgroup (compile time only)
; SGPRBlocks: 0
; VGPRBlocks: 0
; NumSGPRsForWavesPerEU: 4
; NumVGPRsForWavesPerEU: 1
; AccumOffset: 4
; Occupancy: 8
; WaveLimiterHint : 0
; COMPUTE_PGM_RSRC2:SCRATCH_EN: 0
; COMPUTE_PGM_RSRC2:USER_SGPR: 6
; COMPUTE_PGM_RSRC2:TRAP_HANDLER: 0
; COMPUTE_PGM_RSRC2:TGID_X_EN: 1
; COMPUTE_PGM_RSRC2:TGID_Y_EN: 0
; COMPUTE_PGM_RSRC2:TGID_Z_EN: 0
; COMPUTE_PGM_RSRC2:TIDIG_COMP_CNT: 0
; COMPUTE_PGM_RSRC3_GFX90A:ACCUM_OFFSET: 0
; COMPUTE_PGM_RSRC3_GFX90A:TG_SPLIT: 0
	.section	.text._ZN2ck27kernel_gemm_xdl_cshuffle_v3INS_28GridwiseGemm_xdl_cshuffle_v3INS_13tensor_layout4gemm8RowMajorENS3_11ColumnMajorES4_fffffNS_16tensor_operation12element_wise11PassThroughES8_S8_LNS6_6device18GemmSpecializationE0ELi128ELi64ELi64ELi64ELi4ELi4ELi16ELi16ELi2ELi2ENS_8SequenceIJLi4ELi32ELi1EEEENSB_IJLi1ELi0ELi2EEEESD_Li2ELi2ELi2ELb0ELi0ESC_SD_SD_Li2ELi2ELi2ELb0ELi0ELi1ELi2ENSB_IJLi1ELi32ELi1ELi4EEEELi2ELNS_26BlockGemmPipelineSchedulerE0ELNS_24BlockGemmPipelineVersionE2EffLb0ELb0ELb0ELi0ELb0EEELb1ELNS_25InMemoryDataOperationEnumE0ELi2ELNS_10TailNumberE10EEEvNT_8ArgumentE,"axG",@progbits,_ZN2ck27kernel_gemm_xdl_cshuffle_v3INS_28GridwiseGemm_xdl_cshuffle_v3INS_13tensor_layout4gemm8RowMajorENS3_11ColumnMajorES4_fffffNS_16tensor_operation12element_wise11PassThroughES8_S8_LNS6_6device18GemmSpecializationE0ELi128ELi64ELi64ELi64ELi4ELi4ELi16ELi16ELi2ELi2ENS_8SequenceIJLi4ELi32ELi1EEEENSB_IJLi1ELi0ELi2EEEESD_Li2ELi2ELi2ELb0ELi0ESC_SD_SD_Li2ELi2ELi2ELb0ELi0ELi1ELi2ENSB_IJLi1ELi32ELi1ELi4EEEELi2ELNS_26BlockGemmPipelineSchedulerE0ELNS_24BlockGemmPipelineVersionE2EffLb0ELb0ELb0ELi0ELb0EEELb1ELNS_25InMemoryDataOperationEnumE0ELi2ELNS_10TailNumberE10EEEvNT_8ArgumentE,comdat
	.protected	_ZN2ck27kernel_gemm_xdl_cshuffle_v3INS_28GridwiseGemm_xdl_cshuffle_v3INS_13tensor_layout4gemm8RowMajorENS3_11ColumnMajorES4_fffffNS_16tensor_operation12element_wise11PassThroughES8_S8_LNS6_6device18GemmSpecializationE0ELi128ELi64ELi64ELi64ELi4ELi4ELi16ELi16ELi2ELi2ENS_8SequenceIJLi4ELi32ELi1EEEENSB_IJLi1ELi0ELi2EEEESD_Li2ELi2ELi2ELb0ELi0ESC_SD_SD_Li2ELi2ELi2ELb0ELi0ELi1ELi2ENSB_IJLi1ELi32ELi1ELi4EEEELi2ELNS_26BlockGemmPipelineSchedulerE0ELNS_24BlockGemmPipelineVersionE2EffLb0ELb0ELb0ELi0ELb0EEELb1ELNS_25InMemoryDataOperationEnumE0ELi2ELNS_10TailNumberE10EEEvNT_8ArgumentE ; -- Begin function _ZN2ck27kernel_gemm_xdl_cshuffle_v3INS_28GridwiseGemm_xdl_cshuffle_v3INS_13tensor_layout4gemm8RowMajorENS3_11ColumnMajorES4_fffffNS_16tensor_operation12element_wise11PassThroughES8_S8_LNS6_6device18GemmSpecializationE0ELi128ELi64ELi64ELi64ELi4ELi4ELi16ELi16ELi2ELi2ENS_8SequenceIJLi4ELi32ELi1EEEENSB_IJLi1ELi0ELi2EEEESD_Li2ELi2ELi2ELb0ELi0ESC_SD_SD_Li2ELi2ELi2ELb0ELi0ELi1ELi2ENSB_IJLi1ELi32ELi1ELi4EEEELi2ELNS_26BlockGemmPipelineSchedulerE0ELNS_24BlockGemmPipelineVersionE2EffLb0ELb0ELb0ELi0ELb0EEELb1ELNS_25InMemoryDataOperationEnumE0ELi2ELNS_10TailNumberE10EEEvNT_8ArgumentE
	.globl	_ZN2ck27kernel_gemm_xdl_cshuffle_v3INS_28GridwiseGemm_xdl_cshuffle_v3INS_13tensor_layout4gemm8RowMajorENS3_11ColumnMajorES4_fffffNS_16tensor_operation12element_wise11PassThroughES8_S8_LNS6_6device18GemmSpecializationE0ELi128ELi64ELi64ELi64ELi4ELi4ELi16ELi16ELi2ELi2ENS_8SequenceIJLi4ELi32ELi1EEEENSB_IJLi1ELi0ELi2EEEESD_Li2ELi2ELi2ELb0ELi0ESC_SD_SD_Li2ELi2ELi2ELb0ELi0ELi1ELi2ENSB_IJLi1ELi32ELi1ELi4EEEELi2ELNS_26BlockGemmPipelineSchedulerE0ELNS_24BlockGemmPipelineVersionE2EffLb0ELb0ELb0ELi0ELb0EEELb1ELNS_25InMemoryDataOperationEnumE0ELi2ELNS_10TailNumberE10EEEvNT_8ArgumentE
	.p2align	8
	.type	_ZN2ck27kernel_gemm_xdl_cshuffle_v3INS_28GridwiseGemm_xdl_cshuffle_v3INS_13tensor_layout4gemm8RowMajorENS3_11ColumnMajorES4_fffffNS_16tensor_operation12element_wise11PassThroughES8_S8_LNS6_6device18GemmSpecializationE0ELi128ELi64ELi64ELi64ELi4ELi4ELi16ELi16ELi2ELi2ENS_8SequenceIJLi4ELi32ELi1EEEENSB_IJLi1ELi0ELi2EEEESD_Li2ELi2ELi2ELb0ELi0ESC_SD_SD_Li2ELi2ELi2ELb0ELi0ELi1ELi2ENSB_IJLi1ELi32ELi1ELi4EEEELi2ELNS_26BlockGemmPipelineSchedulerE0ELNS_24BlockGemmPipelineVersionE2EffLb0ELb0ELb0ELi0ELb0EEELb1ELNS_25InMemoryDataOperationEnumE0ELi2ELNS_10TailNumberE10EEEvNT_8ArgumentE,@function
_ZN2ck27kernel_gemm_xdl_cshuffle_v3INS_28GridwiseGemm_xdl_cshuffle_v3INS_13tensor_layout4gemm8RowMajorENS3_11ColumnMajorES4_fffffNS_16tensor_operation12element_wise11PassThroughES8_S8_LNS6_6device18GemmSpecializationE0ELi128ELi64ELi64ELi64ELi4ELi4ELi16ELi16ELi2ELi2ENS_8SequenceIJLi4ELi32ELi1EEEENSB_IJLi1ELi0ELi2EEEESD_Li2ELi2ELi2ELb0ELi0ESC_SD_SD_Li2ELi2ELi2ELb0ELi0ELi1ELi2ENSB_IJLi1ELi32ELi1ELi4EEEELi2ELNS_26BlockGemmPipelineSchedulerE0ELNS_24BlockGemmPipelineVersionE2EffLb0ELb0ELb0ELi0ELb0EEELb1ELNS_25InMemoryDataOperationEnumE0ELi2ELNS_10TailNumberE10EEEvNT_8ArgumentE: ; @_ZN2ck27kernel_gemm_xdl_cshuffle_v3INS_28GridwiseGemm_xdl_cshuffle_v3INS_13tensor_layout4gemm8RowMajorENS3_11ColumnMajorES4_fffffNS_16tensor_operation12element_wise11PassThroughES8_S8_LNS6_6device18GemmSpecializationE0ELi128ELi64ELi64ELi64ELi4ELi4ELi16ELi16ELi2ELi2ENS_8SequenceIJLi4ELi32ELi1EEEENSB_IJLi1ELi0ELi2EEEESD_Li2ELi2ELi2ELb0ELi0ESC_SD_SD_Li2ELi2ELi2ELb0ELi0ELi1ELi2ENSB_IJLi1ELi32ELi1ELi4EEEELi2ELNS_26BlockGemmPipelineSchedulerE0ELNS_24BlockGemmPipelineVersionE2EffLb0ELb0ELb0ELi0ELb0EEELb1ELNS_25InMemoryDataOperationEnumE0ELi2ELNS_10TailNumberE10EEEvNT_8ArgumentE
; %bb.0:
	s_endpgm
	.section	.rodata,"a",@progbits
	.p2align	6, 0x0
	.amdhsa_kernel _ZN2ck27kernel_gemm_xdl_cshuffle_v3INS_28GridwiseGemm_xdl_cshuffle_v3INS_13tensor_layout4gemm8RowMajorENS3_11ColumnMajorES4_fffffNS_16tensor_operation12element_wise11PassThroughES8_S8_LNS6_6device18GemmSpecializationE0ELi128ELi64ELi64ELi64ELi4ELi4ELi16ELi16ELi2ELi2ENS_8SequenceIJLi4ELi32ELi1EEEENSB_IJLi1ELi0ELi2EEEESD_Li2ELi2ELi2ELb0ELi0ESC_SD_SD_Li2ELi2ELi2ELb0ELi0ELi1ELi2ENSB_IJLi1ELi32ELi1ELi4EEEELi2ELNS_26BlockGemmPipelineSchedulerE0ELNS_24BlockGemmPipelineVersionE2EffLb0ELb0ELb0ELi0ELb0EEELb1ELNS_25InMemoryDataOperationEnumE0ELi2ELNS_10TailNumberE10EEEvNT_8ArgumentE
		.amdhsa_group_segment_fixed_size 0
		.amdhsa_private_segment_fixed_size 0
		.amdhsa_kernarg_size 112
		.amdhsa_user_sgpr_count 6
		.amdhsa_user_sgpr_private_segment_buffer 1
		.amdhsa_user_sgpr_dispatch_ptr 0
		.amdhsa_user_sgpr_queue_ptr 0
		.amdhsa_user_sgpr_kernarg_segment_ptr 1
		.amdhsa_user_sgpr_dispatch_id 0
		.amdhsa_user_sgpr_flat_scratch_init 0
		.amdhsa_user_sgpr_kernarg_preload_length 0
		.amdhsa_user_sgpr_kernarg_preload_offset 0
		.amdhsa_user_sgpr_private_segment_size 0
		.amdhsa_uses_dynamic_stack 0
		.amdhsa_system_sgpr_private_segment_wavefront_offset 0
		.amdhsa_system_sgpr_workgroup_id_x 1
		.amdhsa_system_sgpr_workgroup_id_y 0
		.amdhsa_system_sgpr_workgroup_id_z 0
		.amdhsa_system_sgpr_workgroup_info 0
		.amdhsa_system_vgpr_workitem_id 0
		.amdhsa_next_free_vgpr 1
		.amdhsa_next_free_sgpr 0
		.amdhsa_accum_offset 4
		.amdhsa_reserve_vcc 0
		.amdhsa_reserve_flat_scratch 0
		.amdhsa_float_round_mode_32 0
		.amdhsa_float_round_mode_16_64 0
		.amdhsa_float_denorm_mode_32 3
		.amdhsa_float_denorm_mode_16_64 3
		.amdhsa_dx10_clamp 1
		.amdhsa_ieee_mode 1
		.amdhsa_fp16_overflow 0
		.amdhsa_tg_split 0
		.amdhsa_exception_fp_ieee_invalid_op 0
		.amdhsa_exception_fp_denorm_src 0
		.amdhsa_exception_fp_ieee_div_zero 0
		.amdhsa_exception_fp_ieee_overflow 0
		.amdhsa_exception_fp_ieee_underflow 0
		.amdhsa_exception_fp_ieee_inexact 0
		.amdhsa_exception_int_div_zero 0
	.end_amdhsa_kernel
	.section	.text._ZN2ck27kernel_gemm_xdl_cshuffle_v3INS_28GridwiseGemm_xdl_cshuffle_v3INS_13tensor_layout4gemm8RowMajorENS3_11ColumnMajorES4_fffffNS_16tensor_operation12element_wise11PassThroughES8_S8_LNS6_6device18GemmSpecializationE0ELi128ELi64ELi64ELi64ELi4ELi4ELi16ELi16ELi2ELi2ENS_8SequenceIJLi4ELi32ELi1EEEENSB_IJLi1ELi0ELi2EEEESD_Li2ELi2ELi2ELb0ELi0ESC_SD_SD_Li2ELi2ELi2ELb0ELi0ELi1ELi2ENSB_IJLi1ELi32ELi1ELi4EEEELi2ELNS_26BlockGemmPipelineSchedulerE0ELNS_24BlockGemmPipelineVersionE2EffLb0ELb0ELb0ELi0ELb0EEELb1ELNS_25InMemoryDataOperationEnumE0ELi2ELNS_10TailNumberE10EEEvNT_8ArgumentE,"axG",@progbits,_ZN2ck27kernel_gemm_xdl_cshuffle_v3INS_28GridwiseGemm_xdl_cshuffle_v3INS_13tensor_layout4gemm8RowMajorENS3_11ColumnMajorES4_fffffNS_16tensor_operation12element_wise11PassThroughES8_S8_LNS6_6device18GemmSpecializationE0ELi128ELi64ELi64ELi64ELi4ELi4ELi16ELi16ELi2ELi2ENS_8SequenceIJLi4ELi32ELi1EEEENSB_IJLi1ELi0ELi2EEEESD_Li2ELi2ELi2ELb0ELi0ESC_SD_SD_Li2ELi2ELi2ELb0ELi0ELi1ELi2ENSB_IJLi1ELi32ELi1ELi4EEEELi2ELNS_26BlockGemmPipelineSchedulerE0ELNS_24BlockGemmPipelineVersionE2EffLb0ELb0ELb0ELi0ELb0EEELb1ELNS_25InMemoryDataOperationEnumE0ELi2ELNS_10TailNumberE10EEEvNT_8ArgumentE,comdat
.Lfunc_end4:
	.size	_ZN2ck27kernel_gemm_xdl_cshuffle_v3INS_28GridwiseGemm_xdl_cshuffle_v3INS_13tensor_layout4gemm8RowMajorENS3_11ColumnMajorES4_fffffNS_16tensor_operation12element_wise11PassThroughES8_S8_LNS6_6device18GemmSpecializationE0ELi128ELi64ELi64ELi64ELi4ELi4ELi16ELi16ELi2ELi2ENS_8SequenceIJLi4ELi32ELi1EEEENSB_IJLi1ELi0ELi2EEEESD_Li2ELi2ELi2ELb0ELi0ESC_SD_SD_Li2ELi2ELi2ELb0ELi0ELi1ELi2ENSB_IJLi1ELi32ELi1ELi4EEEELi2ELNS_26BlockGemmPipelineSchedulerE0ELNS_24BlockGemmPipelineVersionE2EffLb0ELb0ELb0ELi0ELb0EEELb1ELNS_25InMemoryDataOperationEnumE0ELi2ELNS_10TailNumberE10EEEvNT_8ArgumentE, .Lfunc_end4-_ZN2ck27kernel_gemm_xdl_cshuffle_v3INS_28GridwiseGemm_xdl_cshuffle_v3INS_13tensor_layout4gemm8RowMajorENS3_11ColumnMajorES4_fffffNS_16tensor_operation12element_wise11PassThroughES8_S8_LNS6_6device18GemmSpecializationE0ELi128ELi64ELi64ELi64ELi4ELi4ELi16ELi16ELi2ELi2ENS_8SequenceIJLi4ELi32ELi1EEEENSB_IJLi1ELi0ELi2EEEESD_Li2ELi2ELi2ELb0ELi0ESC_SD_SD_Li2ELi2ELi2ELb0ELi0ELi1ELi2ENSB_IJLi1ELi32ELi1ELi4EEEELi2ELNS_26BlockGemmPipelineSchedulerE0ELNS_24BlockGemmPipelineVersionE2EffLb0ELb0ELb0ELi0ELb0EEELb1ELNS_25InMemoryDataOperationEnumE0ELi2ELNS_10TailNumberE10EEEvNT_8ArgumentE
                                        ; -- End function
	.section	.AMDGPU.csdata,"",@progbits
; Kernel info:
; codeLenInByte = 4
; NumSgprs: 4
; NumVgprs: 0
; NumAgprs: 0
; TotalNumVgprs: 0
; ScratchSize: 0
; MemoryBound: 0
; FloatMode: 240
; IeeeMode: 1
; LDSByteSize: 0 bytes/workgroup (compile time only)
; SGPRBlocks: 0
; VGPRBlocks: 0
; NumSGPRsForWavesPerEU: 4
; NumVGPRsForWavesPerEU: 1
; AccumOffset: 4
; Occupancy: 8
; WaveLimiterHint : 0
; COMPUTE_PGM_RSRC2:SCRATCH_EN: 0
; COMPUTE_PGM_RSRC2:USER_SGPR: 6
; COMPUTE_PGM_RSRC2:TRAP_HANDLER: 0
; COMPUTE_PGM_RSRC2:TGID_X_EN: 1
; COMPUTE_PGM_RSRC2:TGID_Y_EN: 0
; COMPUTE_PGM_RSRC2:TGID_Z_EN: 0
; COMPUTE_PGM_RSRC2:TIDIG_COMP_CNT: 0
; COMPUTE_PGM_RSRC3_GFX90A:ACCUM_OFFSET: 0
; COMPUTE_PGM_RSRC3_GFX90A:TG_SPLIT: 0
	.text
	.p2alignl 6, 3212836864
	.fill 256, 4, 3212836864
	.type	__hip_cuid_9d2920a2f453f39a,@object ; @__hip_cuid_9d2920a2f453f39a
	.section	.bss,"aw",@nobits
	.globl	__hip_cuid_9d2920a2f453f39a
__hip_cuid_9d2920a2f453f39a:
	.byte	0                               ; 0x0
	.size	__hip_cuid_9d2920a2f453f39a, 1

	.ident	"AMD clang version 19.0.0git (https://github.com/RadeonOpenCompute/llvm-project roc-6.4.0 25133 c7fe45cf4b819c5991fe208aaa96edf142730f1d)"
	.section	".note.GNU-stack","",@progbits
	.addrsig
	.addrsig_sym __hip_cuid_9d2920a2f453f39a
	.amdgpu_metadata
---
amdhsa.kernels:
  - .agpr_count:     0
    .args:           []
    .group_segment_fixed_size: 0
    .kernarg_segment_align: 4
    .kernarg_segment_size: 0
    .language:       OpenCL C
    .language_version:
      - 2
      - 0
    .max_flat_workgroup_size: 1024
    .name:           _ZN2ckL12flush_icacheEv
    .private_segment_fixed_size: 0
    .sgpr_count:     4
    .sgpr_spill_count: 0
    .symbol:         _ZN2ckL12flush_icacheEv.kd
    .uniform_work_group_size: 1
    .uses_dynamic_stack: false
    .vgpr_count:     0
    .vgpr_spill_count: 0
    .wavefront_size: 64
  - .agpr_count:     0
    .args:
      - .offset:         0
        .size:           112
        .value_kind:     by_value
    .group_segment_fixed_size: 32768
    .kernarg_segment_align: 8
    .kernarg_segment_size: 112
    .language:       OpenCL C
    .language_version:
      - 2
      - 0
    .max_flat_workgroup_size: 128
    .name:           _ZN2ck27kernel_gemm_xdl_cshuffle_v3INS_28GridwiseGemm_xdl_cshuffle_v3INS_13tensor_layout4gemm8RowMajorENS3_11ColumnMajorES4_fffffNS_16tensor_operation12element_wise11PassThroughES8_S8_LNS6_6device18GemmSpecializationE0ELi128ELi64ELi64ELi64ELi4ELi4ELi16ELi16ELi2ELi4ENS_8SequenceIJLi4ELi32ELi1EEEENSB_IJLi1ELi0ELi2EEEESD_Li2ELi2ELi2ELb0ELi0ESC_SD_SD_Li2ELi2ELi2ELb0ELi0ELi1ELi2ENSB_IJLi1ELi32ELi1ELi4EEEELi2ELNS_26BlockGemmPipelineSchedulerE0ELNS_24BlockGemmPipelineVersionE2EffLb0ELb0ELb0ELi0ELb0EEELb1ELNS_25InMemoryDataOperationEnumE1ELi2ELNS_10TailNumberE10EEEvNT_8ArgumentE
    .private_segment_fixed_size: 0
    .sgpr_count:     32
    .sgpr_spill_count: 0
    .symbol:         _ZN2ck27kernel_gemm_xdl_cshuffle_v3INS_28GridwiseGemm_xdl_cshuffle_v3INS_13tensor_layout4gemm8RowMajorENS3_11ColumnMajorES4_fffffNS_16tensor_operation12element_wise11PassThroughES8_S8_LNS6_6device18GemmSpecializationE0ELi128ELi64ELi64ELi64ELi4ELi4ELi16ELi16ELi2ELi4ENS_8SequenceIJLi4ELi32ELi1EEEENSB_IJLi1ELi0ELi2EEEESD_Li2ELi2ELi2ELb0ELi0ESC_SD_SD_Li2ELi2ELi2ELb0ELi0ELi1ELi2ENSB_IJLi1ELi32ELi1ELi4EEEELi2ELNS_26BlockGemmPipelineSchedulerE0ELNS_24BlockGemmPipelineVersionE2EffLb0ELb0ELb0ELi0ELb0EEELb1ELNS_25InMemoryDataOperationEnumE1ELi2ELNS_10TailNumberE10EEEvNT_8ArgumentE.kd
    .uniform_work_group_size: 1
    .uses_dynamic_stack: false
    .vgpr_count:     254
    .vgpr_spill_count: 0
    .wavefront_size: 64
  - .agpr_count:     0
    .args:
      - .offset:         0
        .size:           112
        .value_kind:     by_value
    .group_segment_fixed_size: 32768
    .kernarg_segment_align: 8
    .kernarg_segment_size: 112
    .language:       OpenCL C
    .language_version:
      - 2
      - 0
    .max_flat_workgroup_size: 128
    .name:           _ZN2ck27kernel_gemm_xdl_cshuffle_v3INS_28GridwiseGemm_xdl_cshuffle_v3INS_13tensor_layout4gemm8RowMajorENS3_11ColumnMajorES4_fffffNS_16tensor_operation12element_wise11PassThroughES8_S8_LNS6_6device18GemmSpecializationE0ELi128ELi64ELi64ELi64ELi4ELi4ELi16ELi16ELi2ELi4ENS_8SequenceIJLi4ELi32ELi1EEEENSB_IJLi1ELi0ELi2EEEESD_Li2ELi2ELi2ELb0ELi0ESC_SD_SD_Li2ELi2ELi2ELb0ELi0ELi1ELi2ENSB_IJLi1ELi32ELi1ELi4EEEELi2ELNS_26BlockGemmPipelineSchedulerE0ELNS_24BlockGemmPipelineVersionE2EffLb0ELb0ELb0ELi0ELb0EEELb1ELNS_25InMemoryDataOperationEnumE0ELi2ELNS_10TailNumberE10EEEvNT_8ArgumentE
    .private_segment_fixed_size: 0
    .sgpr_count:     32
    .sgpr_spill_count: 0
    .symbol:         _ZN2ck27kernel_gemm_xdl_cshuffle_v3INS_28GridwiseGemm_xdl_cshuffle_v3INS_13tensor_layout4gemm8RowMajorENS3_11ColumnMajorES4_fffffNS_16tensor_operation12element_wise11PassThroughES8_S8_LNS6_6device18GemmSpecializationE0ELi128ELi64ELi64ELi64ELi4ELi4ELi16ELi16ELi2ELi4ENS_8SequenceIJLi4ELi32ELi1EEEENSB_IJLi1ELi0ELi2EEEESD_Li2ELi2ELi2ELb0ELi0ESC_SD_SD_Li2ELi2ELi2ELb0ELi0ELi1ELi2ENSB_IJLi1ELi32ELi1ELi4EEEELi2ELNS_26BlockGemmPipelineSchedulerE0ELNS_24BlockGemmPipelineVersionE2EffLb0ELb0ELb0ELi0ELb0EEELb1ELNS_25InMemoryDataOperationEnumE0ELi2ELNS_10TailNumberE10EEEvNT_8ArgumentE.kd
    .uniform_work_group_size: 1
    .uses_dynamic_stack: false
    .vgpr_count:     254
    .vgpr_spill_count: 0
    .wavefront_size: 64
  - .agpr_count:     0
    .args:
      - .offset:         0
        .size:           112
        .value_kind:     by_value
    .group_segment_fixed_size: 0
    .kernarg_segment_align: 8
    .kernarg_segment_size: 112
    .language:       OpenCL C
    .language_version:
      - 2
      - 0
    .max_flat_workgroup_size: 128
    .name:           _ZN2ck27kernel_gemm_xdl_cshuffle_v3INS_28GridwiseGemm_xdl_cshuffle_v3INS_13tensor_layout4gemm8RowMajorENS3_11ColumnMajorES4_fffffNS_16tensor_operation12element_wise11PassThroughES8_S8_LNS6_6device18GemmSpecializationE0ELi128ELi64ELi64ELi64ELi4ELi4ELi16ELi16ELi2ELi2ENS_8SequenceIJLi4ELi32ELi1EEEENSB_IJLi1ELi0ELi2EEEESD_Li2ELi2ELi2ELb0ELi0ESC_SD_SD_Li2ELi2ELi2ELb0ELi0ELi1ELi2ENSB_IJLi1ELi32ELi1ELi4EEEELi2ELNS_26BlockGemmPipelineSchedulerE0ELNS_24BlockGemmPipelineVersionE2EffLb0ELb0ELb0ELi0ELb0EEELb1ELNS_25InMemoryDataOperationEnumE1ELi2ELNS_10TailNumberE10EEEvNT_8ArgumentE
    .private_segment_fixed_size: 0
    .sgpr_count:     4
    .sgpr_spill_count: 0
    .symbol:         _ZN2ck27kernel_gemm_xdl_cshuffle_v3INS_28GridwiseGemm_xdl_cshuffle_v3INS_13tensor_layout4gemm8RowMajorENS3_11ColumnMajorES4_fffffNS_16tensor_operation12element_wise11PassThroughES8_S8_LNS6_6device18GemmSpecializationE0ELi128ELi64ELi64ELi64ELi4ELi4ELi16ELi16ELi2ELi2ENS_8SequenceIJLi4ELi32ELi1EEEENSB_IJLi1ELi0ELi2EEEESD_Li2ELi2ELi2ELb0ELi0ESC_SD_SD_Li2ELi2ELi2ELb0ELi0ELi1ELi2ENSB_IJLi1ELi32ELi1ELi4EEEELi2ELNS_26BlockGemmPipelineSchedulerE0ELNS_24BlockGemmPipelineVersionE2EffLb0ELb0ELb0ELi0ELb0EEELb1ELNS_25InMemoryDataOperationEnumE1ELi2ELNS_10TailNumberE10EEEvNT_8ArgumentE.kd
    .uniform_work_group_size: 1
    .uses_dynamic_stack: false
    .vgpr_count:     0
    .vgpr_spill_count: 0
    .wavefront_size: 64
  - .agpr_count:     0
    .args:
      - .offset:         0
        .size:           112
        .value_kind:     by_value
    .group_segment_fixed_size: 0
    .kernarg_segment_align: 8
    .kernarg_segment_size: 112
    .language:       OpenCL C
    .language_version:
      - 2
      - 0
    .max_flat_workgroup_size: 128
    .name:           _ZN2ck27kernel_gemm_xdl_cshuffle_v3INS_28GridwiseGemm_xdl_cshuffle_v3INS_13tensor_layout4gemm8RowMajorENS3_11ColumnMajorES4_fffffNS_16tensor_operation12element_wise11PassThroughES8_S8_LNS6_6device18GemmSpecializationE0ELi128ELi64ELi64ELi64ELi4ELi4ELi16ELi16ELi2ELi2ENS_8SequenceIJLi4ELi32ELi1EEEENSB_IJLi1ELi0ELi2EEEESD_Li2ELi2ELi2ELb0ELi0ESC_SD_SD_Li2ELi2ELi2ELb0ELi0ELi1ELi2ENSB_IJLi1ELi32ELi1ELi4EEEELi2ELNS_26BlockGemmPipelineSchedulerE0ELNS_24BlockGemmPipelineVersionE2EffLb0ELb0ELb0ELi0ELb0EEELb1ELNS_25InMemoryDataOperationEnumE0ELi2ELNS_10TailNumberE10EEEvNT_8ArgumentE
    .private_segment_fixed_size: 0
    .sgpr_count:     4
    .sgpr_spill_count: 0
    .symbol:         _ZN2ck27kernel_gemm_xdl_cshuffle_v3INS_28GridwiseGemm_xdl_cshuffle_v3INS_13tensor_layout4gemm8RowMajorENS3_11ColumnMajorES4_fffffNS_16tensor_operation12element_wise11PassThroughES8_S8_LNS6_6device18GemmSpecializationE0ELi128ELi64ELi64ELi64ELi4ELi4ELi16ELi16ELi2ELi2ENS_8SequenceIJLi4ELi32ELi1EEEENSB_IJLi1ELi0ELi2EEEESD_Li2ELi2ELi2ELb0ELi0ESC_SD_SD_Li2ELi2ELi2ELb0ELi0ELi1ELi2ENSB_IJLi1ELi32ELi1ELi4EEEELi2ELNS_26BlockGemmPipelineSchedulerE0ELNS_24BlockGemmPipelineVersionE2EffLb0ELb0ELb0ELi0ELb0EEELb1ELNS_25InMemoryDataOperationEnumE0ELi2ELNS_10TailNumberE10EEEvNT_8ArgumentE.kd
    .uniform_work_group_size: 1
    .uses_dynamic_stack: false
    .vgpr_count:     0
    .vgpr_spill_count: 0
    .wavefront_size: 64
amdhsa.target:   amdgcn-amd-amdhsa--gfx90a
amdhsa.version:
  - 1
  - 2
...

	.end_amdgpu_metadata
